;; amdgpu-corpus repo=ROCm/rocFFT kind=compiled arch=gfx1100 opt=O3
	.text
	.amdgcn_target "amdgcn-amd-amdhsa--gfx1100"
	.amdhsa_code_object_version 6
	.protected	bluestein_single_back_len1728_dim1_dp_op_CI_CI ; -- Begin function bluestein_single_back_len1728_dim1_dp_op_CI_CI
	.globl	bluestein_single_back_len1728_dim1_dp_op_CI_CI
	.p2align	8
	.type	bluestein_single_back_len1728_dim1_dp_op_CI_CI,@function
bluestein_single_back_len1728_dim1_dp_op_CI_CI: ; @bluestein_single_back_len1728_dim1_dp_op_CI_CI
; %bb.0:
	s_load_b128 s[8:11], s[0:1], 0x28
	v_mul_u32_u24_e32 v1, 0x25f, v0
	s_mov_b32 s2, exec_lo
	v_mov_b32_e32 v12, 0
	s_delay_alu instid0(VALU_DEP_2) | instskip(NEXT) | instid1(VALU_DEP_1)
	v_lshrrev_b32_e32 v1, 16, v1
	v_add_nc_u32_e32 v11, s15, v1
	s_waitcnt lgkmcnt(0)
	s_delay_alu instid0(VALU_DEP_1)
	v_cmpx_gt_u64_e64 s[8:9], v[11:12]
	s_cbranch_execz .LBB0_31
; %bb.1:
	s_clause 0x1
	s_load_b128 s[4:7], s[0:1], 0x18
	s_load_b64 s[16:17], s[0:1], 0x0
	v_mul_lo_u16 v1, 0x6c, v1
	s_delay_alu instid0(VALU_DEP_1) | instskip(NEXT) | instid1(VALU_DEP_1)
	v_sub_nc_u16 v2, v0, v1
	v_and_b32_e32 v220, 0xffff, v2
	s_delay_alu instid0(VALU_DEP_1)
	v_lshlrev_b32_e32 v56, 4, v220
	v_or_b32_e32 v12, 0x480, v220
	s_waitcnt lgkmcnt(0)
	s_load_b128 s[12:15], s[4:5], 0x0
	s_clause 0x2
	global_load_b128 v[127:130], v56, s[16:17]
	global_load_b128 v[131:134], v56, s[16:17] offset:1728
	global_load_b128 v[135:138], v56, s[16:17] offset:3456
	v_add_co_u32 v51, s2, s16, v56
	s_delay_alu instid0(VALU_DEP_1) | instskip(SKIP_1) | instid1(VALU_DEP_3)
	v_add_co_ci_u32_e64 v55, null, s17, 0, s2
	v_lshlrev_b32_e32 v52, 4, v12
	v_add_co_u32 v9, vcc_lo, 0x2000, v51
	s_delay_alu instid0(VALU_DEP_3)
	v_add_co_ci_u32_e32 v10, vcc_lo, 0, v55, vcc_lo
	v_add_co_u32 v7, vcc_lo, 0x4000, v51
	v_add_co_ci_u32_e32 v8, vcc_lo, 0, v55, vcc_lo
	v_add_co_u32 v53, vcc_lo, 0x3000, v51
	;; [unrolled: 2-line block ×4, first 2 shown]
	v_add_co_ci_u32_e32 v62, vcc_lo, 0, v55, vcc_lo
	s_clause 0x1
	scratch_store_b64 off, v[9:10], off offset:28
	scratch_store_b64 off, v[7:8], off offset:4
	s_clause 0x1
	global_load_b128 v[139:142], v52, s[16:17]
	global_load_b128 v[155:158], v[9:10], off offset:1024
	s_waitcnt lgkmcnt(0)
	v_mad_u64_u32 v[3:4], null, s14, v11, 0
	s_clause 0x2
	global_load_b128 v[151:154], v[9:10], off offset:2752
	global_load_b128 v[147:150], v[7:8], off offset:3776
	;; [unrolled: 1-line block ×3, first 2 shown]
	v_mov_b32_e32 v7, v11
	v_mad_u64_u32 v[5:6], null, s12, v220, 0
	s_mul_i32 s3, s13, 0x240
	s_mul_hi_u32 s4, s12, 0x240
	s_clause 0x1
	scratch_store_b64 off, v[7:8], off offset:156
	scratch_store_b32 off, v12, off
	s_mul_i32 s2, s12, 0x240
	s_add_i32 s3, s4, s3
	v_mad_u64_u32 v[7:8], null, s15, v11, v[4:5]
	v_mad_u64_u32 v[8:9], null, s12, v12, 0
	s_mul_i32 s5, s13, 0xffffe2c0
	s_mul_hi_u32 s9, s12, 0xfffffbec
	s_sub_i32 s4, s5, s12
	s_mul_i32 s8, s13, 0xfffffbec
	s_delay_alu instid0(VALU_DEP_2) | instskip(NEXT) | instid1(VALU_DEP_2)
	v_mad_u64_u32 v[10:11], null, s13, v220, v[6:7]
	v_dual_mov_b32 v4, v7 :: v_dual_mov_b32 v7, v9
	s_delay_alu instid0(VALU_DEP_1) | instskip(NEXT) | instid1(VALU_DEP_3)
	v_lshlrev_b64 v[3:4], 4, v[3:4]
	v_mov_b32_e32 v6, v10
	s_delay_alu instid0(VALU_DEP_3) | instskip(NEXT) | instid1(VALU_DEP_2)
	v_mad_u64_u32 v[9:10], null, s13, v12, v[7:8]
	v_lshlrev_b64 v[5:6], 4, v[5:6]
	s_delay_alu instid0(VALU_DEP_4) | instskip(SKIP_2) | instid1(VALU_DEP_2)
	v_add_co_u32 v7, vcc_lo, s10, v3
	v_add_co_ci_u32_e32 v14, vcc_lo, s11, v4, vcc_lo
	s_lshl_b64 s[10:11], s[2:3], 4
	v_add_co_u32 v10, vcc_lo, v7, v5
	s_delay_alu instid0(VALU_DEP_2) | instskip(SKIP_1) | instid1(VALU_DEP_3)
	v_add_co_ci_u32_e32 v11, vcc_lo, v14, v6, vcc_lo
	v_lshlrev_b64 v[3:4], 4, v[8:9]
	v_add_co_u32 v12, vcc_lo, v10, s10
	s_delay_alu instid0(VALU_DEP_3) | instskip(SKIP_1) | instid1(VALU_DEP_3)
	v_add_co_ci_u32_e32 v13, vcc_lo, s11, v11, vcc_lo
	s_sub_i32 s3, s9, s12
	v_add_co_u32 v3, vcc_lo, v7, v3
	s_delay_alu instid0(VALU_DEP_2) | instskip(SKIP_3) | instid1(SALU_CYCLE_1)
	v_mad_u64_u32 v[15:16], null, 0xffffe2c0, s12, v[12:13]
	v_add_co_ci_u32_e32 v4, vcc_lo, v14, v4, vcc_lo
	s_mul_i32 s2, s12, 0xfffffbec
	s_add_i32 s3, s3, s8
	s_lshl_b64 s[2:3], s[2:3], 4
	s_delay_alu instid0(VALU_DEP_2) | instskip(NEXT) | instid1(VALU_DEP_3)
	v_add_nc_u32_e32 v16, s4, v16
	v_add_co_u32 v19, vcc_lo, v15, s10
	s_clause 0x2
	global_load_b128 v[3:6], v[3:4], off
	global_load_b128 v[7:10], v[10:11], off
	global_load_b128 v[11:14], v[12:13], off
	v_add_co_ci_u32_e32 v20, vcc_lo, s11, v16, vcc_lo
	v_add_co_u32 v23, vcc_lo, v19, s10
	global_load_b128 v[15:18], v[15:16], off
	v_add_co_ci_u32_e32 v24, vcc_lo, s11, v20, vcc_lo
	v_add_co_u32 v27, vcc_lo, v23, s2
	s_delay_alu instid0(VALU_DEP_2) | instskip(NEXT) | instid1(VALU_DEP_2)
	v_add_co_ci_u32_e32 v28, vcc_lo, s3, v24, vcc_lo
	v_add_co_u32 v31, vcc_lo, v27, s10
	s_clause 0x1
	global_load_b128 v[19:22], v[19:20], off
	global_load_b128 v[23:26], v[23:24], off
	v_add_co_ci_u32_e32 v32, vcc_lo, s11, v28, vcc_lo
	v_add_co_u32 v35, vcc_lo, v31, s10
	global_load_b128 v[27:30], v[27:28], off
	v_add_co_ci_u32_e32 v36, vcc_lo, s11, v32, vcc_lo
	v_add_co_u32 v39, vcc_lo, v35, s2
	;; [unrolled: 3-line block ×5, first 2 shown]
	global_load_b128 v[43:46], v[43:44], off
	v_add_co_ci_u32_e32 v64, vcc_lo, s3, v48, vcc_lo
	s_clause 0x1
	global_load_b128 v[167:170], v[53:54], off offset:384
	global_load_b128 v[159:162], v[53:54], off offset:2112
	global_load_b128 v[47:50], v[47:48], off
	s_clause 0x1
	global_load_b128 v[171:174], v[0:1], off offset:1408
	global_load_b128 v[163:166], v[0:1], off offset:3136
	global_load_b128 v[57:60], v[63:64], off
	v_add_co_u32 v63, vcc_lo, v63, s10
	v_add_co_ci_u32_e32 v64, vcc_lo, s11, v64, vcc_lo
	v_add_co_u32 v65, vcc_lo, 0x6000, v51
	v_add_co_ci_u32_e32 v66, vcc_lo, 0, v55, vcc_lo
	s_delay_alu instid0(VALU_DEP_4) | instskip(NEXT) | instid1(VALU_DEP_4)
	v_add_co_u32 v0, vcc_lo, v63, s10
	v_add_co_ci_u32_e32 v1, vcc_lo, s11, v64, vcc_lo
	global_load_b128 v[175:178], v[61:62], off offset:2816
	global_load_b128 v[61:64], v[63:64], off
	global_load_b128 v[179:182], v[53:54], off offset:3840
	scratch_store_b64 off, v[65:66], off offset:148 ; 8-byte Folded Spill
	global_load_b128 v[183:186], v[65:66], off offset:768
	global_load_b128 v[65:68], v[0:1], off
	v_cmp_gt_u16_e32 vcc_lo, 36, v2
	s_waitcnt vmcnt(29)
	scratch_store_b128 off, v[127:130], off offset:12 ; 16-byte Folded Spill
	s_waitcnt vmcnt(28)
	scratch_store_b128 off, v[131:134], off offset:36 ; 16-byte Folded Spill
	;; [unrolled: 2-line block ×8, first 2 shown]
	s_waitcnt vmcnt(20)
	v_mul_f64 v[53:54], v[9:10], v[129:130]
	v_mul_f64 v[69:70], v[7:8], v[129:130]
	s_waitcnt vmcnt(19)
	v_mul_f64 v[75:76], v[13:14], v[157:158]
	v_mul_f64 v[77:78], v[11:12], v[157:158]
	;; [unrolled: 1-line block ×4, first 2 shown]
	s_waitcnt vmcnt(18)
	v_mul_f64 v[79:80], v[17:18], v[133:134]
	v_mul_f64 v[81:82], v[15:16], v[133:134]
	s_waitcnt vmcnt(17)
	v_mul_f64 v[83:84], v[21:22], v[153:154]
	s_waitcnt vmcnt(16)
	v_mul_f64 v[87:88], v[25:26], v[149:150]
	v_mul_f64 v[89:90], v[23:24], v[149:150]
	;; [unrolled: 1-line block ×3, first 2 shown]
	s_waitcnt vmcnt(15)
	v_mul_f64 v[91:92], v[29:30], v[137:138]
	v_mul_f64 v[93:94], v[27:28], v[137:138]
	s_waitcnt vmcnt(12)
	v_mul_f64 v[103:104], v[41:42], v[145:146]
	v_mul_f64 v[105:106], v[39:40], v[145:146]
	v_fma_f64 v[7:8], v[7:8], v[127:128], v[53:54]
	s_waitcnt vmcnt(10)
	v_mul_f64 v[95:96], v[33:34], v[169:170]
	v_mul_f64 v[97:98], v[31:32], v[169:170]
	s_waitcnt vmcnt(9)
	v_mul_f64 v[107:108], v[45:46], v[161:162]
	v_mul_f64 v[109:110], v[43:44], v[161:162]
	;; [unrolled: 3-line block ×4, first 2 shown]
	v_fma_f64 v[9:10], v[9:10], v[127:128], -v[69:70]
	v_fma_f64 v[11:12], v[11:12], v[155:156], v[75:76]
	v_fma_f64 v[13:14], v[13:14], v[155:156], -v[77:78]
	v_fma_f64 v[15:16], v[15:16], v[131:132], v[79:80]
	;; [unrolled: 2-line block ×4, first 2 shown]
	s_waitcnt vmcnt(4)
	v_mul_f64 v[115:116], v[59:60], v[177:178]
	v_mul_f64 v[117:118], v[57:58], v[177:178]
	s_waitcnt vmcnt(2)
	v_mul_f64 v[119:120], v[63:64], v[181:182]
	v_mul_f64 v[121:122], v[61:62], v[181:182]
	;; [unrolled: 3-line block ×3, first 2 shown]
	v_fma_f64 v[25:26], v[25:26], v[147:148], -v[89:90]
	v_fma_f64 v[19:20], v[19:20], v[151:152], v[83:84]
	v_fma_f64 v[21:22], v[21:22], v[151:152], -v[85:86]
	v_fma_f64 v[27:28], v[27:28], v[135:136], v[91:92]
	v_fma_f64 v[29:30], v[29:30], v[135:136], -v[93:94]
	s_clause 0x6
	scratch_store_b128 off, v[167:170], off offset:200
	scratch_store_b128 off, v[171:174], off offset:216
	;; [unrolled: 1-line block ×7, first 2 shown]
	s_load_b64 s[8:9], s[0:1], 0x38
	s_load_b128 s[4:7], s[6:7], 0x0
	v_fma_f64 v[39:40], v[39:40], v[143:144], v[103:104]
	v_fma_f64 v[41:42], v[41:42], v[143:144], -v[105:106]
	v_fma_f64 v[31:32], v[31:32], v[167:168], v[95:96]
	v_fma_f64 v[33:34], v[33:34], v[167:168], -v[97:98]
	;; [unrolled: 2-line block ×5, first 2 shown]
	ds_store_b128 v56, v[7:10]
	ds_store_b128 v56, v[15:18] offset:1728
	ds_store_b128 v56, v[3:6] offset:18432
	;; [unrolled: 1-line block ×9, first 2 shown]
	v_fma_f64 v[57:58], v[57:58], v[175:176], v[115:116]
	v_fma_f64 v[59:60], v[59:60], v[175:176], -v[117:118]
	v_fma_f64 v[61:62], v[61:62], v[179:180], v[119:120]
	v_fma_f64 v[63:64], v[63:64], v[179:180], -v[121:122]
	;; [unrolled: 2-line block ×3, first 2 shown]
	ds_store_b128 v56, v[11:14] offset:9216
	ds_store_b128 v56, v[57:60] offset:6912
	;; [unrolled: 1-line block ×5, first 2 shown]
	s_and_saveexec_b32 s12, vcc_lo
	s_cbranch_execz .LBB0_3
; %bb.2:
	scratch_load_b64 v[4:5], off, off offset:28 ; 8-byte Folded Reload
	v_add_co_u32 v0, s2, v0, s2
	s_delay_alu instid0(VALU_DEP_1) | instskip(NEXT) | instid1(VALU_DEP_2)
	v_add_co_ci_u32_e64 v1, s2, s3, v1, s2
	v_add_co_u32 v8, s2, v0, s10
	s_delay_alu instid0(VALU_DEP_1) | instskip(SKIP_2) | instid1(VALU_DEP_1)
	v_add_co_ci_u32_e64 v9, s2, s11, v1, s2
	global_load_b128 v[0:3], v[0:1], off
	v_add_co_u32 v20, s2, v8, s10
	v_add_co_ci_u32_e64 v21, s2, s11, v9, s2
	s_waitcnt vmcnt(1)
	global_load_b128 v[4:7], v[4:5], off offset:448
	global_load_b128 v[8:11], v[8:9], off
	scratch_load_b64 v[12:13], off, off offset:4 ; 8-byte Folded Reload
	s_waitcnt vmcnt(0)
	global_load_b128 v[12:15], v[12:13], off offset:1472
	scratch_load_b64 v[16:17], off, off offset:148 ; 8-byte Folded Reload
	v_mul_f64 v[24:25], v[2:3], v[6:7]
	v_mul_f64 v[6:7], v[0:1], v[6:7]
	s_waitcnt vmcnt(0)
	global_load_b128 v[16:19], v[16:17], off offset:2496
	global_load_b128 v[20:23], v[20:21], off
	v_mul_f64 v[26:27], v[10:11], v[14:15]
	v_mul_f64 v[14:15], v[8:9], v[14:15]
	v_fma_f64 v[0:1], v[0:1], v[4:5], v[24:25]
	v_fma_f64 v[2:3], v[2:3], v[4:5], -v[6:7]
	s_delay_alu instid0(VALU_DEP_4) | instskip(NEXT) | instid1(VALU_DEP_4)
	v_fma_f64 v[4:5], v[8:9], v[12:13], v[26:27]
	v_fma_f64 v[6:7], v[10:11], v[12:13], -v[14:15]
	s_waitcnt vmcnt(0)
	v_mul_f64 v[28:29], v[22:23], v[18:19]
	v_mul_f64 v[18:19], v[20:21], v[18:19]
	s_delay_alu instid0(VALU_DEP_2) | instskip(NEXT) | instid1(VALU_DEP_2)
	v_fma_f64 v[8:9], v[20:21], v[16:17], v[28:29]
	v_fma_f64 v[10:11], v[22:23], v[16:17], -v[18:19]
	ds_store_b128 v56, v[0:3] offset:8640
	ds_store_b128 v56, v[4:7] offset:17856
	;; [unrolled: 1-line block ×3, first 2 shown]
.LBB0_3:
	s_or_b32 exec_lo, exec_lo, s12
	s_waitcnt lgkmcnt(0)
	s_waitcnt_vscnt null, 0x0
	s_barrier
	buffer_gl0_inv
	ds_load_b128 v[24:27], v56
	ds_load_b128 v[20:23], v56 offset:1728
	ds_load_b128 v[0:3], v56 offset:18432
	;; [unrolled: 1-line block ×14, first 2 shown]
                                        ; implicit-def: $vgpr40_vgpr41
                                        ; implicit-def: $vgpr72_vgpr73
                                        ; implicit-def: $vgpr68_vgpr69
	s_and_saveexec_b32 s2, vcc_lo
	s_cbranch_execz .LBB0_5
; %bb.4:
	ds_load_b128 v[40:43], v56 offset:8640
	ds_load_b128 v[72:75], v56 offset:17856
	;; [unrolled: 1-line block ×3, first 2 shown]
.LBB0_5:
	s_or_b32 exec_lo, exec_lo, s2
	s_waitcnt lgkmcnt(4)
	v_add_f64 v[53:54], v[76:77], v[0:1]
	v_add_f64 v[57:58], v[78:79], v[2:3]
	;; [unrolled: 1-line block ×6, first 2 shown]
	s_waitcnt lgkmcnt(2)
	v_add_f64 v[88:89], v[64:65], v[12:13]
	v_add_f64 v[90:91], v[66:67], v[14:15]
	s_waitcnt lgkmcnt(0)
	v_add_f64 v[92:93], v[60:61], v[16:17]
	v_add_f64 v[94:95], v[62:63], v[18:19]
	;; [unrolled: 1-line block ×5, first 2 shown]
	v_add_f64 v[104:105], v[78:79], -v[2:3]
	v_add_f64 v[78:79], v[26:27], v[78:79]
	v_add_f64 v[76:77], v[76:77], -v[0:1]
	v_add_f64 v[108:109], v[36:37], v[44:45]
	v_add_f64 v[110:111], v[38:39], v[46:47]
	;; [unrolled: 1-line block ×10, first 2 shown]
	v_add_f64 v[50:51], v[50:51], -v[6:7]
	v_add_f64 v[48:49], v[48:49], -v[4:5]
	;; [unrolled: 1-line block ×10, first 2 shown]
	s_load_b64 s[2:3], s[0:1], 0x8
	s_mov_b32 s0, 0xe8584caa
	v_fma_f64 v[24:25], v[53:54], -0.5, v[24:25]
	v_fma_f64 v[26:27], v[57:58], -0.5, v[26:27]
	;; [unrolled: 1-line block ×12, first 2 shown]
	s_mov_b32 s1, 0x3febb67a
	s_mov_b32 s11, 0xbfebb67a
	s_mov_b32 s10, s0
	v_add_f64 v[0:1], v[100:101], v[0:1]
	v_add_f64 v[2:3], v[78:79], v[2:3]
	v_add_f64 v[8:9], v[108:109], v[8:9]
	v_add_f64 v[10:11], v[110:111], v[10:11]
	v_add_f64 v[108:109], v[116:117], v[16:17]
	v_add_f64 v[110:111], v[118:119], v[18:19]
	v_add_f64 v[4:5], v[102:103], v[4:5]
	v_add_f64 v[6:7], v[106:107], v[6:7]
	v_add_f64 v[12:13], v[112:113], v[12:13]
	v_add_f64 v[14:15], v[114:115], v[14:15]
	v_add_f64 v[100:101], v[120:121], v[68:69]
	v_add_f64 v[102:103], v[122:123], v[70:71]
	s_waitcnt lgkmcnt(0)
	s_barrier
	buffer_gl0_inv
	v_fma_f64 v[16:17], v[104:105], s[0:1], v[24:25]
	v_fma_f64 v[18:19], v[76:77], s[10:11], v[26:27]
	;; [unrolled: 1-line block ×24, first 2 shown]
	v_mul_lo_u16 v50, v220, 3
	v_add_co_u32 v25, s0, 0x6c, v220
	s_delay_alu instid0(VALU_DEP_1) | instskip(NEXT) | instid1(VALU_DEP_3)
	v_add_co_ci_u32_e64 v24, null, 0, 0, s0
	v_and_b32_e32 v50, 0xffff, v50
	v_add_co_u32 v24, null, 0xd8, v220
	v_add_nc_u32_e32 v51, 0x144, v220
	v_add_nc_u32_e32 v53, 0x1b0, v220
	s_delay_alu instid0(VALU_DEP_4)
	v_lshlrev_b32_e32 v58, 4, v50
	v_add_co_u32 v54, null, 0x21c, v220
	v_mul_u32_u24_e32 v55, 3, v25
	v_mul_u32_u24_e32 v57, 3, v24
	;; [unrolled: 1-line block ×3, first 2 shown]
	ds_store_b128 v58, v[0:3]
	ds_store_b128 v58, v[16:19] offset:16
	v_mul_u32_u24_e32 v0, 3, v53
	v_lshlrev_b32_e32 v55, 4, v55
	v_lshlrev_b32_e32 v51, 4, v57
	;; [unrolled: 1-line block ×3, first 2 shown]
	v_mul_u32_u24_e32 v2, 3, v54
	v_lshlrev_b32_e32 v0, 4, v0
	scratch_store_b32 off, v58, off offset:332 ; 4-byte Folded Spill
	ds_store_b128 v58, v[20:23] offset:32
	ds_store_b128 v55, v[4:7]
	ds_store_b128 v55, v[26:29] offset:16
	scratch_store_b32 off, v55, off offset:328 ; 4-byte Folded Spill
	ds_store_b128 v55, v[30:33] offset:32
	ds_store_b128 v51, v[8:11]
	ds_store_b128 v51, v[34:37] offset:16
	;; [unrolled: 4-line block ×3, first 2 shown]
	s_clause 0x1
	scratch_store_b32 off, v2, off offset:320
	scratch_store_b32 off, v1, off offset:316
	ds_store_b128 v1, v[46:49] offset:32
	ds_store_b128 v0, v[108:111]
	ds_store_b128 v0, v[104:107] offset:16
	scratch_store_b32 off, v0, off offset:280 ; 4-byte Folded Spill
	ds_store_b128 v0, v[112:115] offset:32
	s_and_saveexec_b32 s0, vcc_lo
	s_cbranch_execz .LBB0_7
; %bb.6:
	scratch_load_b32 v0, off, off offset:320 ; 4-byte Folded Reload
	s_waitcnt vmcnt(0)
	v_lshlrev_b32_e32 v0, 4, v0
	ds_store_b128 v0, v[100:103]
	ds_store_b128 v0, v[116:119] offset:16
	ds_store_b128 v0, v[124:127] offset:32
.LBB0_7:
	s_or_b32 exec_lo, exec_lo, s0
	s_waitcnt lgkmcnt(0)
	s_waitcnt_vscnt null, 0x0
	s_barrier
	buffer_gl0_inv
	ds_load_b128 v[128:131], v56
	ds_load_b128 v[120:123], v56 offset:1728
	ds_load_b128 v[4:7], v56 offset:4608
	;; [unrolled: 1-line block ×11, first 2 shown]
	v_cmp_gt_u16_e64 s0, 0x48, v220
	s_delay_alu instid0(VALU_DEP_1)
	s_and_saveexec_b32 s1, s0
	s_cbranch_execz .LBB0_9
; %bb.8:
	ds_load_b128 v[108:111], v56 offset:3456
	ds_load_b128 v[104:107], v56 offset:8064
	;; [unrolled: 1-line block ×6, first 2 shown]
.LBB0_9:
	s_or_b32 exec_lo, exec_lo, s1
	v_and_b32_e32 v26, 0xff, v220
	s_mov_b32 s10, 0xe8584caa
	s_mov_b32 s11, 0x3febb67a
	;; [unrolled: 1-line block ×4, first 2 shown]
	v_mul_lo_u16 v27, 0xab, v26
	s_delay_alu instid0(VALU_DEP_1) | instskip(NEXT) | instid1(VALU_DEP_1)
	v_lshrrev_b16 v29, 9, v27
	v_mul_lo_u16 v27, v29, 3
	s_delay_alu instid0(VALU_DEP_1) | instskip(NEXT) | instid1(VALU_DEP_1)
	v_sub_nc_u16 v27, v220, v27
	v_and_b32_e32 v30, 0xff, v27
	s_delay_alu instid0(VALU_DEP_1)
	v_mad_u64_u32 v[31:32], null, 0x50, v30, s[2:3]
	s_clause 0x1
	global_load_b128 v[35:38], v[31:32], off offset:32
	global_load_b128 v[84:87], v[31:32], off offset:64
	s_waitcnt vmcnt(1) lgkmcnt(5)
	v_mul_f64 v[27:28], v[22:23], v[37:38]
	scratch_store_b128 off, v[35:38], off offset:352 ; 16-byte Folded Spill
	v_fma_f64 v[33:34], v[20:21], v[35:36], -v[27:28]
	v_mul_f64 v[20:21], v[20:21], v[37:38]
	v_and_b32_e32 v27, 0xff, v25
	v_and_b32_e32 v28, 0xffff, v24
	s_delay_alu instid0(VALU_DEP_3) | instskip(SKIP_2) | instid1(VALU_DEP_1)
	v_fma_f64 v[20:21], v[22:23], v[35:36], v[20:21]
	s_waitcnt vmcnt(0) lgkmcnt(1)
	v_mul_f64 v[22:23], v[16:17], v[86:87]
	v_fma_f64 v[22:23], v[18:19], v[84:85], v[22:23]
	v_mul_f64 v[18:19], v[18:19], v[86:87]
	s_delay_alu instid0(VALU_DEP_1) | instskip(SKIP_1) | instid1(VALU_DEP_1)
	v_fma_f64 v[18:19], v[16:17], v[84:85], -v[18:19]
	v_mul_lo_u16 v16, 0xab, v27
	v_lshrrev_b16 v16, 9, v16
	s_delay_alu instid0(VALU_DEP_1) | instskip(NEXT) | instid1(VALU_DEP_1)
	v_mul_lo_u16 v17, v16, 3
	v_sub_nc_u16 v17, v25, v17
	s_delay_alu instid0(VALU_DEP_1) | instskip(NEXT) | instid1(VALU_DEP_1)
	v_and_b32_e32 v17, 0xff, v17
	v_mad_u64_u32 v[35:36], null, 0x50, v17, s[2:3]
	s_clause 0x1
	global_load_b128 v[76:79], v[35:36], off offset:32
	global_load_b128 v[80:83], v[35:36], off offset:64
	s_waitcnt vmcnt(1)
	v_mul_f64 v[37:38], v[14:15], v[78:79]
	s_delay_alu instid0(VALU_DEP_1) | instskip(SKIP_1) | instid1(VALU_DEP_1)
	v_fma_f64 v[43:44], v[12:13], v[76:77], -v[37:38]
	v_mul_f64 v[12:13], v[12:13], v[78:79]
	v_fma_f64 v[45:46], v[14:15], v[76:77], v[12:13]
	s_waitcnt vmcnt(0) lgkmcnt(0)
	v_mul_f64 v[12:13], v[8:9], v[82:83]
	s_delay_alu instid0(VALU_DEP_1) | instskip(SKIP_1) | instid1(VALU_DEP_1)
	v_fma_f64 v[47:48], v[10:11], v[80:81], v[12:13]
	v_mul_f64 v[10:11], v[10:11], v[82:83]
	v_fma_f64 v[49:50], v[8:9], v[80:81], -v[10:11]
	global_load_b128 v[10:13], v[31:32], off
	s_waitcnt vmcnt(0)
	v_mul_f64 v[8:9], v[6:7], v[12:13]
	s_delay_alu instid0(VALU_DEP_1) | instskip(SKIP_1) | instid1(VALU_DEP_1)
	v_fma_f64 v[37:38], v[4:5], v[10:11], -v[8:9]
	v_mul_f64 v[4:5], v[4:5], v[12:13]
	v_fma_f64 v[39:40], v[6:7], v[10:11], v[4:5]
	global_load_b128 v[6:9], v[35:36], off
	scratch_store_b128 off, v[10:13], off offset:284 ; 16-byte Folded Spill
	s_waitcnt vmcnt(0)
	scratch_store_b128 off, v[6:9], off offset:300 ; 16-byte Folded Spill
	v_mul_f64 v[4:5], v[2:3], v[8:9]
	s_delay_alu instid0(VALU_DEP_1) | instskip(SKIP_1) | instid1(VALU_DEP_1)
	v_fma_f64 v[53:54], v[0:1], v[6:7], -v[4:5]
	v_mul_f64 v[0:1], v[0:1], v[8:9]
	v_fma_f64 v[57:58], v[2:3], v[6:7], v[0:1]
	global_load_b128 v[2:5], v[31:32], off offset:16
	s_waitcnt vmcnt(0)
	v_mul_f64 v[0:1], v[98:99], v[4:5]
	scratch_store_b128 off, v[2:5], off offset:336 ; 16-byte Folded Spill
	v_fma_f64 v[41:42], v[96:97], v[2:3], -v[0:1]
	v_mul_f64 v[0:1], v[96:97], v[4:5]
	s_delay_alu instid0(VALU_DEP_1) | instskip(SKIP_3) | instid1(VALU_DEP_1)
	v_fma_f64 v[140:141], v[98:99], v[2:3], v[0:1]
	global_load_b128 v[96:99], v[31:32], off offset:48
	s_waitcnt vmcnt(0)
	v_mul_f64 v[0:1], v[90:91], v[98:99]
	v_fma_f64 v[31:32], v[88:89], v[96:97], -v[0:1]
	v_mul_f64 v[0:1], v[88:89], v[98:99]
	s_delay_alu instid0(VALU_DEP_1) | instskip(SKIP_3) | instid1(VALU_DEP_1)
	v_fma_f64 v[142:143], v[90:91], v[96:97], v[0:1]
	global_load_b128 v[88:91], v[35:36], off offset:16
	s_waitcnt vmcnt(0)
	v_mul_f64 v[0:1], v[94:95], v[90:91]
	v_fma_f64 v[144:145], v[92:93], v[88:89], -v[0:1]
	v_mul_f64 v[0:1], v[92:93], v[90:91]
	s_delay_alu instid0(VALU_DEP_1) | instskip(SKIP_3) | instid1(VALU_DEP_1)
	v_fma_f64 v[146:147], v[94:95], v[88:89], v[0:1]
	global_load_b128 v[92:95], v[35:36], off offset:48
	s_waitcnt vmcnt(0)
	v_mul_f64 v[0:1], v[134:135], v[94:95]
	v_fma_f64 v[148:149], v[132:133], v[92:93], -v[0:1]
	v_mul_f64 v[0:1], v[132:133], v[94:95]
	s_delay_alu instid0(VALU_DEP_1) | instskip(SKIP_1) | instid1(VALU_DEP_1)
	v_fma_f64 v[150:151], v[134:135], v[92:93], v[0:1]
	v_mul_u32_u24_e32 v0, 0xaaab, v28
	v_lshrrev_b32_e32 v51, 17, v0
	s_delay_alu instid0(VALU_DEP_1) | instskip(NEXT) | instid1(VALU_DEP_1)
	v_mul_lo_u16 v0, v51, 3
	v_sub_nc_u16 v55, v24, v0
	s_delay_alu instid0(VALU_DEP_1) | instskip(NEXT) | instid1(VALU_DEP_1)
	v_mul_lo_u16 v0, 0x50, v55
	v_and_b32_e32 v0, 0xffff, v0
	s_delay_alu instid0(VALU_DEP_1) | instskip(NEXT) | instid1(VALU_DEP_1)
	v_add_co_u32 v0, s1, s2, v0
	v_add_co_ci_u32_e64 v1, null, s3, 0, s1
	s_clause 0x1
	global_load_b128 v[132:135], v[0:1], off offset:32
	global_load_b128 v[136:139], v[0:1], off offset:64
	s_waitcnt vmcnt(1)
	v_mul_f64 v[2:3], v[102:103], v[134:135]
	s_delay_alu instid0(VALU_DEP_1) | instskip(SKIP_1) | instid1(VALU_DEP_1)
	v_fma_f64 v[152:153], v[100:101], v[132:133], -v[2:3]
	v_mul_f64 v[2:3], v[100:101], v[134:135]
	v_fma_f64 v[154:155], v[102:103], v[132:133], v[2:3]
	global_load_b128 v[100:103], v[0:1], off
	s_waitcnt vmcnt(1)
	v_mul_f64 v[2:3], v[124:125], v[138:139]
	s_delay_alu instid0(VALU_DEP_1) | instskip(SKIP_1) | instid1(VALU_DEP_1)
	v_fma_f64 v[156:157], v[126:127], v[136:137], v[2:3]
	v_mul_f64 v[2:3], v[126:127], v[138:139]
	v_fma_f64 v[124:125], v[124:125], v[136:137], -v[2:3]
	s_waitcnt vmcnt(0)
	v_mul_f64 v[2:3], v[106:107], v[102:103]
	s_delay_alu instid0(VALU_DEP_1) | instskip(SKIP_1) | instid1(VALU_DEP_1)
	v_fma_f64 v[126:127], v[104:105], v[100:101], -v[2:3]
	v_mul_f64 v[2:3], v[104:105], v[102:103]
	v_fma_f64 v[158:159], v[106:107], v[100:101], v[2:3]
	global_load_b128 v[104:107], v[0:1], off offset:16
	s_waitcnt vmcnt(0)
	v_mul_f64 v[2:3], v[114:115], v[106:107]
	s_delay_alu instid0(VALU_DEP_1) | instskip(SKIP_1) | instid1(VALU_DEP_1)
	v_fma_f64 v[160:161], v[112:113], v[104:105], -v[2:3]
	v_mul_f64 v[2:3], v[112:113], v[106:107]
	v_fma_f64 v[162:163], v[114:115], v[104:105], v[2:3]
	global_load_b128 v[112:115], v[0:1], off offset:48
	v_add_f64 v[2:3], v[130:131], v[140:141]
	s_waitcnt vmcnt(0)
	s_waitcnt_vscnt null, 0x0
	s_barrier
	buffer_gl0_inv
	v_add_f64 v[6:7], v[2:3], v[142:143]
	v_mul_f64 v[0:1], v[118:119], v[114:115]
	s_delay_alu instid0(VALU_DEP_1) | instskip(SKIP_1) | instid1(VALU_DEP_1)
	v_fma_f64 v[164:165], v[116:117], v[112:113], -v[0:1]
	v_mul_f64 v[0:1], v[116:117], v[114:115]
	v_fma_f64 v[166:167], v[118:119], v[112:113], v[0:1]
	v_add_f64 v[0:1], v[41:42], v[31:32]
	s_delay_alu instid0(VALU_DEP_1) | instskip(SKIP_1) | instid1(VALU_DEP_1)
	v_fma_f64 v[35:36], v[0:1], -0.5, v[128:129]
	v_add_f64 v[0:1], v[140:141], v[142:143]
	v_fma_f64 v[172:173], v[0:1], -0.5, v[130:131]
	v_add_f64 v[0:1], v[128:129], v[41:42]
	v_add_f64 v[41:42], v[41:42], -v[31:32]
	s_delay_alu instid0(VALU_DEP_2) | instskip(SKIP_1) | instid1(VALU_DEP_1)
	v_add_f64 v[4:5], v[0:1], v[31:32]
	v_add_f64 v[0:1], v[37:38], v[33:34]
	;; [unrolled: 1-line block ×4, first 2 shown]
	s_delay_alu instid0(VALU_DEP_1) | instskip(NEXT) | instid1(VALU_DEP_3)
	v_add_f64 v[10:11], v[0:1], v[22:23]
	v_add_f64 v[0:1], v[4:5], v[8:9]
	v_add_f64 v[4:5], v[4:5], -v[8:9]
	v_add_f64 v[8:9], v[144:145], v[148:149]
	s_delay_alu instid0(VALU_DEP_4) | instskip(SKIP_2) | instid1(VALU_DEP_4)
	v_add_f64 v[2:3], v[6:7], v[10:11]
	v_add_f64 v[6:7], v[6:7], -v[10:11]
	v_add_f64 v[10:11], v[122:123], v[146:147]
	v_fma_f64 v[128:129], v[8:9], -0.5, v[120:121]
	v_add_f64 v[8:9], v[146:147], v[150:151]
	s_delay_alu instid0(VALU_DEP_3) | instskip(NEXT) | instid1(VALU_DEP_2)
	v_add_f64 v[14:15], v[10:11], v[150:151]
	v_fma_f64 v[130:131], v[8:9], -0.5, v[122:123]
	v_add_f64 v[8:9], v[120:121], v[144:145]
	v_add_f64 v[120:121], v[140:141], -v[142:143]
	v_fma_f64 v[122:123], v[41:42], s[12:13], v[172:173]
	v_fma_f64 v[41:42], v[41:42], s[10:11], v[172:173]
	s_delay_alu instid0(VALU_DEP_4) | instskip(SKIP_1) | instid1(VALU_DEP_1)
	v_add_f64 v[12:13], v[8:9], v[148:149]
	v_add_f64 v[8:9], v[53:54], v[43:44]
	;; [unrolled: 1-line block ×4, first 2 shown]
	s_delay_alu instid0(VALU_DEP_1) | instskip(NEXT) | instid1(VALU_DEP_3)
	v_add_f64 v[118:119], v[8:9], v[47:48]
	v_add_f64 v[8:9], v[12:13], v[116:117]
	v_add_f64 v[12:13], v[12:13], -v[116:117]
	v_add_f64 v[116:117], v[160:161], v[164:165]
	s_delay_alu instid0(VALU_DEP_4) | instskip(SKIP_2) | instid1(VALU_DEP_4)
	v_add_f64 v[10:11], v[14:15], v[118:119]
	v_add_f64 v[14:15], v[14:15], -v[118:119]
	v_add_f64 v[118:119], v[158:159], v[154:155]
	v_fma_f64 v[176:177], v[116:117], -0.5, v[108:109]
	v_add_f64 v[116:117], v[162:163], v[166:167]
	v_add_f64 v[108:109], v[108:109], v[160:161]
	s_delay_alu instid0(VALU_DEP_4) | instskip(NEXT) | instid1(VALU_DEP_3)
	v_add_f64 v[118:119], v[118:119], v[156:157]
	v_fma_f64 v[178:179], v[116:117], -0.5, v[110:111]
	v_add_f64 v[110:111], v[110:111], v[162:163]
	v_add_f64 v[116:117], v[126:127], v[152:153]
	;; [unrolled: 1-line block ×3, first 2 shown]
	s_delay_alu instid0(VALU_DEP_3) | instskip(NEXT) | instid1(VALU_DEP_3)
	v_add_f64 v[110:111], v[110:111], v[166:167]
	v_add_f64 v[116:117], v[116:117], v[124:125]
	s_delay_alu instid0(VALU_DEP_2) | instskip(NEXT) | instid1(VALU_DEP_2)
	v_add_f64 v[170:171], v[110:111], v[118:119]
	v_add_f64 v[168:169], v[108:109], v[116:117]
	v_add_f64 v[116:117], v[108:109], -v[116:117]
	v_add_f64 v[118:119], v[110:111], -v[118:119]
	v_add_f64 v[108:109], v[33:34], v[18:19]
	v_add_f64 v[110:111], v[33:34], -v[18:19]
	v_add_f64 v[18:19], v[20:21], v[22:23]
	v_add_f64 v[22:23], v[20:21], -v[22:23]
	s_delay_alu instid0(VALU_DEP_4) | instskip(SKIP_1) | instid1(VALU_DEP_4)
	v_fma_f64 v[37:38], v[108:109], -0.5, v[37:38]
	v_fma_f64 v[108:109], v[120:121], s[10:11], v[35:36]
	v_fma_f64 v[39:40], v[18:19], -0.5, v[39:40]
	s_delay_alu instid0(VALU_DEP_3) | instskip(SKIP_1) | instid1(VALU_DEP_3)
	v_fma_f64 v[20:21], v[22:23], s[10:11], v[37:38]
	v_fma_f64 v[22:23], v[22:23], s[12:13], v[37:38]
	;; [unrolled: 1-line block ×5, first 2 shown]
	v_add_f64 v[110:111], v[45:46], -v[47:48]
	v_add_f64 v[120:121], v[146:147], -v[150:151]
	v_mul_f64 v[35:36], v[22:23], -0.5
	v_mul_f64 v[31:32], v[18:19], s[10:11]
	s_delay_alu instid0(VALU_DEP_1) | instskip(SKIP_1) | instid1(VALU_DEP_1)
	v_fma_f64 v[31:32], v[20:21], 0.5, v[31:32]
	v_mul_f64 v[20:21], v[20:21], s[12:13]
	v_fma_f64 v[33:34], v[18:19], 0.5, v[20:21]
	s_delay_alu instid0(VALU_DEP_3)
	v_add_f64 v[18:19], v[108:109], v[31:32]
	v_add_f64 v[31:32], v[108:109], -v[31:32]
	v_fma_f64 v[108:109], v[37:38], s[10:11], v[35:36]
	v_mul_f64 v[35:36], v[37:38], -0.5
	v_add_f64 v[20:21], v[122:123], v[33:34]
	v_add_f64 v[33:34], v[122:123], -v[33:34]
	v_add_f64 v[122:123], v[144:145], -v[148:149]
	s_delay_alu instid0(VALU_DEP_4)
	v_fma_f64 v[22:23], v[22:23], s[12:13], v[35:36]
	v_add_f64 v[35:36], v[39:40], v[108:109]
	v_add_f64 v[39:40], v[39:40], -v[108:109]
	v_add_f64 v[108:109], v[43:44], -v[49:50]
	v_fma_f64 v[140:141], v[122:123], s[12:13], v[130:131]
	v_fma_f64 v[122:123], v[122:123], s[10:11], v[130:131]
	v_add_f64 v[37:38], v[41:42], v[22:23]
	v_add_f64 v[41:42], v[41:42], -v[22:23]
	v_add_f64 v[22:23], v[43:44], v[49:50]
	v_add_f64 v[43:44], v[45:46], v[47:48]
	v_add_f64 v[130:131], v[162:163], -v[166:167]
	s_delay_alu instid0(VALU_DEP_3) | instskip(NEXT) | instid1(VALU_DEP_3)
	v_fma_f64 v[22:23], v[22:23], -0.5, v[53:54]
	v_fma_f64 v[57:58], v[43:44], -0.5, v[57:58]
	v_fma_f64 v[53:54], v[120:121], s[10:11], v[128:129]
	s_delay_alu instid0(VALU_DEP_4) | instskip(NEXT) | instid1(VALU_DEP_4)
	v_fma_f64 v[146:147], v[130:131], s[10:11], v[176:177]
	v_fma_f64 v[45:46], v[110:111], s[10:11], v[22:23]
	s_delay_alu instid0(VALU_DEP_4) | instskip(SKIP_1) | instid1(VALU_DEP_2)
	v_fma_f64 v[43:44], v[108:109], s[12:13], v[57:58]
	v_fma_f64 v[22:23], v[110:111], s[12:13], v[22:23]
	v_mul_f64 v[47:48], v[43:44], s[10:11]
	s_delay_alu instid0(VALU_DEP_1) | instskip(SKIP_1) | instid1(VALU_DEP_1)
	v_fma_f64 v[47:48], v[45:46], 0.5, v[47:48]
	v_mul_f64 v[45:46], v[45:46], s[12:13]
	v_fma_f64 v[49:50], v[43:44], 0.5, v[45:46]
	s_delay_alu instid0(VALU_DEP_3)
	v_add_f64 v[43:44], v[53:54], v[47:48]
	v_add_f64 v[47:48], v[53:54], -v[47:48]
	v_fma_f64 v[53:54], v[108:109], s[10:11], v[57:58]
	v_mul_f64 v[108:109], v[22:23], -0.5
	v_fma_f64 v[57:58], v[120:121], s[12:13], v[128:129]
	v_add_f64 v[128:129], v[154:155], -v[156:157]
	v_add_f64 v[45:46], v[140:141], v[49:50]
	v_add_f64 v[49:50], v[140:141], -v[49:50]
	v_add_f64 v[140:141], v[160:161], -v[164:165]
	v_fma_f64 v[120:121], v[53:54], s[10:11], v[108:109]
	v_mul_f64 v[53:54], v[53:54], -0.5
	s_delay_alu instid0(VALU_DEP_3) | instskip(SKIP_1) | instid1(VALU_DEP_4)
	v_fma_f64 v[148:149], v[140:141], s[12:13], v[178:179]
	v_fma_f64 v[140:141], v[140:141], s[10:11], v[178:179]
	v_add_f64 v[108:109], v[57:58], v[120:121]
	s_delay_alu instid0(VALU_DEP_4) | instskip(SKIP_3) | instid1(VALU_DEP_4)
	v_fma_f64 v[22:23], v[22:23], s[12:13], v[53:54]
	v_add_f64 v[120:121], v[57:58], -v[120:121]
	v_add_f64 v[57:58], v[154:155], v[156:157]
	v_add_f64 v[53:54], v[152:153], -v[124:125]
	v_add_f64 v[110:111], v[122:123], v[22:23]
	;; [unrolled: 2-line block ×3, first 2 shown]
	v_fma_f64 v[57:58], v[57:58], -0.5, v[158:159]
	s_delay_alu instid0(VALU_DEP_2) | instskip(NEXT) | instid1(VALU_DEP_2)
	v_fma_f64 v[22:23], v[22:23], -0.5, v[126:127]
	v_fma_f64 v[124:125], v[53:54], s[12:13], v[57:58]
	v_fma_f64 v[53:54], v[53:54], s[10:11], v[57:58]
	;; [unrolled: 1-line block ×3, first 2 shown]
	s_delay_alu instid0(VALU_DEP_4) | instskip(NEXT) | instid1(VALU_DEP_4)
	v_fma_f64 v[126:127], v[128:129], s[10:11], v[22:23]
	v_mul_f64 v[142:143], v[124:125], s[10:11]
	v_fma_f64 v[22:23], v[128:129], s[12:13], v[22:23]
	s_delay_alu instid0(VALU_DEP_2) | instskip(SKIP_1) | instid1(VALU_DEP_3)
	v_fma_f64 v[142:143], v[126:127], 0.5, v[142:143]
	v_mul_f64 v[126:127], v[126:127], s[12:13]
	v_mul_f64 v[128:129], v[22:23], -0.5
	s_delay_alu instid0(VALU_DEP_3) | instskip(NEXT) | instid1(VALU_DEP_3)
	v_add_f64 v[172:173], v[146:147], -v[142:143]
	v_fma_f64 v[144:145], v[124:125], 0.5, v[126:127]
	v_add_f64 v[124:125], v[146:147], v[142:143]
	s_delay_alu instid0(VALU_DEP_4) | instskip(SKIP_1) | instid1(VALU_DEP_4)
	v_fma_f64 v[142:143], v[53:54], s[10:11], v[128:129]
	v_mul_f64 v[53:54], v[53:54], -0.5
	v_add_f64 v[126:127], v[148:149], v[144:145]
	v_add_f64 v[174:175], v[148:149], -v[144:145]
	s_delay_alu instid0(VALU_DEP_4) | instskip(NEXT) | instid1(VALU_DEP_4)
	v_add_f64 v[128:129], v[57:58], v[142:143]
	v_fma_f64 v[22:23], v[22:23], s[12:13], v[53:54]
	v_add_f64 v[180:181], v[57:58], -v[142:143]
	s_delay_alu instid0(VALU_DEP_2) | instskip(SKIP_2) | instid1(VALU_DEP_1)
	v_add_f64 v[130:131], v[140:141], v[22:23]
	v_add_f64 v[182:183], v[140:141], -v[22:23]
	v_and_b32_e32 v22, 0xffff, v29
	v_mul_u32_u24_e32 v22, 18, v22
	s_delay_alu instid0(VALU_DEP_1)
	v_add_lshl_u32 v22, v22, v30, 4
	ds_store_b128 v22, v[0:3]
	ds_store_b128 v22, v[4:7] offset:144
	ds_store_b128 v22, v[18:21] offset:48
	;; [unrolled: 1-line block ×4, first 2 shown]
	v_and_b32_e32 v0, 0xffff, v16
	scratch_store_b32 off, v22, off offset:376 ; 4-byte Folded Spill
	ds_store_b128 v22, v[39:42] offset:240
	v_mul_u32_u24_e32 v0, 18, v0
	s_delay_alu instid0(VALU_DEP_1)
	v_add_lshl_u32 v0, v0, v17, 4
	ds_store_b128 v0, v[8:11]
	ds_store_b128 v0, v[43:46] offset:48
	ds_store_b128 v0, v[108:111] offset:96
	ds_store_b128 v0, v[12:15] offset:144
	ds_store_b128 v0, v[47:50] offset:192
	scratch_store_b32 off, v0, off offset:368 ; 4-byte Folded Spill
	ds_store_b128 v0, v[120:123] offset:240
	v_mad_u16 v0, v51, 18, v55
	scratch_store_b32 off, v0, off offset:372 ; 4-byte Folded Spill
	s_and_saveexec_b32 s1, s0
	s_cbranch_execz .LBB0_11
; %bb.10:
	scratch_load_b32 v0, off, off offset:372 ; 4-byte Folded Reload
	s_waitcnt vmcnt(0)
	v_and_b32_e32 v0, 0xffff, v0
	s_delay_alu instid0(VALU_DEP_1)
	v_lshlrev_b32_e32 v0, 4, v0
	ds_store_b128 v0, v[168:171]
	ds_store_b128 v0, v[124:127] offset:48
	ds_store_b128 v0, v[128:131] offset:96
	;; [unrolled: 1-line block ×5, first 2 shown]
.LBB0_11:
	s_or_b32 exec_lo, exec_lo, s1
	s_waitcnt lgkmcnt(0)
	s_waitcnt_vscnt null, 0x0
	s_barrier
	buffer_gl0_inv
	ds_load_b128 v[196:199], v56
	ds_load_b128 v[176:179], v56 offset:1728
	ds_load_b128 v[4:7], v56 offset:4608
	;; [unrolled: 1-line block ×11, first 2 shown]
	s_and_saveexec_b32 s1, s0
	s_cbranch_execz .LBB0_13
; %bb.12:
	ds_load_b128 v[168:171], v56 offset:3456
	ds_load_b128 v[124:127], v56 offset:8064
	;; [unrolled: 1-line block ×6, first 2 shown]
.LBB0_13:
	s_or_b32 exec_lo, exec_lo, s1
	v_mul_lo_u16 v26, v26, 57
	s_mov_b32 s12, 0xe8584caa
	s_mov_b32 s13, 0x3febb67a
	;; [unrolled: 1-line block ×4, first 2 shown]
	v_lshrrev_b16 v26, 10, v26
	s_delay_alu instid0(VALU_DEP_1) | instskip(SKIP_1) | instid1(VALU_DEP_2)
	v_mul_lo_u16 v29, v26, 18
	v_and_b32_e32 v26, 0xffff, v26
	v_sub_nc_u16 v29, v220, v29
	s_delay_alu instid0(VALU_DEP_2) | instskip(NEXT) | instid1(VALU_DEP_2)
	v_mul_u32_u24_e32 v26, 0x6c, v26
	v_and_b32_e32 v29, 0xff, v29
	s_delay_alu instid0(VALU_DEP_1)
	v_mad_u64_u32 v[30:31], null, 0x50, v29, s[2:3]
	s_clause 0x4
	global_load_b128 v[148:151], v[30:31], off offset:272
	global_load_b128 v[152:155], v[30:31], off offset:256
	;; [unrolled: 1-line block ×5, first 2 shown]
	s_waitcnt vmcnt(4) lgkmcnt(5)
	v_mul_f64 v[32:33], v[22:23], v[150:151]
	s_delay_alu instid0(VALU_DEP_1) | instskip(SKIP_1) | instid1(VALU_DEP_1)
	v_fma_f64 v[42:43], v[20:21], v[148:149], -v[32:33]
	v_mul_f64 v[20:21], v[20:21], v[150:151]
	v_fma_f64 v[44:45], v[22:23], v[148:149], v[20:21]
	s_waitcnt vmcnt(2) lgkmcnt(1)
	v_mul_f64 v[20:21], v[16:17], v[166:167]
	s_delay_alu instid0(VALU_DEP_1) | instskip(SKIP_1) | instid1(VALU_DEP_1)
	v_fma_f64 v[46:47], v[18:19], v[164:165], v[20:21]
	v_mul_f64 v[18:19], v[18:19], v[166:167]
	v_fma_f64 v[48:49], v[16:17], v[164:165], -v[18:19]
	v_mul_lo_u16 v16, v27, 57
	s_delay_alu instid0(VALU_DEP_1) | instskip(NEXT) | instid1(VALU_DEP_1)
	v_lshrrev_b16 v20, 10, v16
	v_mul_lo_u16 v16, v20, 18
	v_and_b32_e32 v20, 0xffff, v20
	s_delay_alu instid0(VALU_DEP_2) | instskip(NEXT) | instid1(VALU_DEP_2)
	v_sub_nc_u16 v16, v25, v16
	v_mul_u32_u24_e32 v20, 0x6c, v20
	s_delay_alu instid0(VALU_DEP_2) | instskip(NEXT) | instid1(VALU_DEP_1)
	v_and_b32_e32 v21, 0xff, v16
	v_mad_u64_u32 v[16:17], null, 0x50, v21, s[2:3]
	s_delay_alu instid0(VALU_DEP_3)
	v_add_lshl_u32 v20, v20, v21, 4
	s_clause 0x2
	global_load_b128 v[156:159], v[16:17], off offset:272
	global_load_b128 v[144:147], v[16:17], off offset:240
	;; [unrolled: 1-line block ×3, first 2 shown]
	s_waitcnt vmcnt(2)
	v_mul_f64 v[18:19], v[14:15], v[158:159]
	s_delay_alu instid0(VALU_DEP_1) | instskip(SKIP_1) | instid1(VALU_DEP_1)
	v_fma_f64 v[50:51], v[12:13], v[156:157], -v[18:19]
	v_mul_f64 v[12:13], v[12:13], v[158:159]
	v_fma_f64 v[53:54], v[14:15], v[156:157], v[12:13]
	s_waitcnt vmcnt(0) lgkmcnt(0)
	v_mul_f64 v[12:13], v[8:9], v[162:163]
	s_delay_alu instid0(VALU_DEP_1) | instskip(SKIP_1) | instid1(VALU_DEP_1)
	v_fma_f64 v[57:58], v[10:11], v[160:161], v[12:13]
	v_mul_f64 v[10:11], v[10:11], v[162:163]
	v_fma_f64 v[200:201], v[8:9], v[160:161], -v[10:11]
	v_mul_f64 v[8:9], v[6:7], v[142:143]
	s_delay_alu instid0(VALU_DEP_1) | instskip(SKIP_1) | instid1(VALU_DEP_1)
	v_fma_f64 v[202:203], v[4:5], v[140:141], -v[8:9]
	v_mul_f64 v[4:5], v[4:5], v[142:143]
	v_fma_f64 v[204:205], v[6:7], v[140:141], v[4:5]
	v_mul_f64 v[4:5], v[2:3], v[146:147]
	s_delay_alu instid0(VALU_DEP_1) | instskip(SKIP_1) | instid1(VALU_DEP_1)
	v_fma_f64 v[206:207], v[0:1], v[144:145], -v[4:5]
	v_mul_f64 v[0:1], v[0:1], v[146:147]
	v_fma_f64 v[208:209], v[2:3], v[144:145], v[0:1]
	;; [unrolled: 5-line block ×3, first 2 shown]
	v_mul_f64 v[0:1], v[186:187], v[194:195]
	global_load_b128 v[188:191], v[16:17], off offset:288
	v_fma_f64 v[214:215], v[184:185], v[192:193], -v[0:1]
	v_mul_f64 v[0:1], v[184:185], v[194:195]
	s_delay_alu instid0(VALU_DEP_1) | instskip(SKIP_3) | instid1(VALU_DEP_1)
	v_fma_f64 v[216:217], v[186:187], v[192:193], v[0:1]
	global_load_b128 v[184:187], v[16:17], off offset:256
	s_waitcnt vmcnt(0)
	v_mul_f64 v[0:1], v[122:123], v[186:187]
	v_fma_f64 v[218:219], v[120:121], v[184:185], -v[0:1]
	v_mul_f64 v[0:1], v[120:121], v[186:187]
	s_delay_alu instid0(VALU_DEP_1) | instskip(SKIP_1) | instid1(VALU_DEP_1)
	v_fma_f64 v[120:121], v[122:123], v[184:185], v[0:1]
	v_mul_f64 v[0:1], v[110:111], v[190:191]
	v_fma_f64 v[122:123], v[108:109], v[188:189], -v[0:1]
	v_mul_f64 v[0:1], v[108:109], v[190:191]
	s_delay_alu instid0(VALU_DEP_1) | instskip(SKIP_1) | instid1(VALU_DEP_1)
	v_fma_f64 v[108:109], v[110:111], v[188:189], v[0:1]
	v_mul_u32_u24_e32 v0, 0xe38f, v28
	v_lshrrev_b32_e32 v55, 20, v0
	s_delay_alu instid0(VALU_DEP_1) | instskip(NEXT) | instid1(VALU_DEP_1)
	v_mul_lo_u16 v0, v55, 18
	v_sub_nc_u16 v59, v24, v0
	s_delay_alu instid0(VALU_DEP_1) | instskip(NEXT) | instid1(VALU_DEP_1)
	v_mul_lo_u16 v0, 0x50, v59
	v_and_b32_e32 v0, 0xffff, v0
	s_delay_alu instid0(VALU_DEP_1) | instskip(NEXT) | instid1(VALU_DEP_1)
	v_add_co_u32 v14, s1, s2, v0
	v_add_co_ci_u32_e64 v15, null, s3, 0, s1
	s_clause 0x3
	global_load_b128 v[4:7], v[14:15], off offset:272
	global_load_b128 v[8:11], v[14:15], off offset:304
	;; [unrolled: 1-line block ×4, first 2 shown]
	s_waitcnt vmcnt(3)
	v_mul_f64 v[2:3], v[116:117], v[6:7]
	v_mul_f64 v[0:1], v[118:119], v[6:7]
	scratch_store_b128 off, v[4:7], off offset:388 ; 16-byte Folded Spill
	s_waitcnt vmcnt(1)
	s_clause 0x1
	scratch_store_b128 off, v[16:19], off offset:404
	scratch_store_b128 off, v[8:11], off offset:420
	s_waitcnt vmcnt(0)
	scratch_store_b128 off, v[22:25], off offset:436 ; 16-byte Folded Spill
	v_mul_f64 v[12:13], v[130:131], v[24:25]
	v_fma_f64 v[6:7], v[118:119], v[4:5], v[2:3]
	v_mul_f64 v[2:3], v[180:181], v[10:11]
	v_fma_f64 v[0:1], v[116:117], v[4:5], -v[0:1]
	s_delay_alu instid0(VALU_DEP_4) | instskip(NEXT) | instid1(VALU_DEP_3)
	v_fma_f64 v[12:13], v[128:129], v[22:23], -v[12:13]
	v_fma_f64 v[4:5], v[182:183], v[8:9], v[2:3]
	v_mul_f64 v[2:3], v[182:183], v[10:11]
	v_mul_f64 v[10:11], v[124:125], v[18:19]
	s_delay_alu instid0(VALU_DEP_2) | instskip(SKIP_1) | instid1(VALU_DEP_3)
	v_fma_f64 v[2:3], v[180:181], v[8:9], -v[2:3]
	v_mul_f64 v[8:9], v[126:127], v[18:19]
	v_fma_f64 v[10:11], v[126:127], v[16:17], v[10:11]
	s_delay_alu instid0(VALU_DEP_2) | instskip(SKIP_1) | instid1(VALU_DEP_1)
	v_fma_f64 v[8:9], v[124:125], v[16:17], -v[8:9]
	v_mul_f64 v[16:17], v[128:129], v[24:25]
	v_fma_f64 v[18:19], v[130:131], v[22:23], v[16:17]
	global_load_b128 v[22:25], v[14:15], off offset:288
	v_add_f64 v[130:131], v[44:45], -v[46:47]
	s_waitcnt vmcnt(0)
	v_mul_f64 v[14:15], v[174:175], v[24:25]
	v_mul_f64 v[16:17], v[172:173], v[24:25]
	scratch_store_b128 off, v[22:25], off offset:452 ; 16-byte Folded Spill
	v_add_f64 v[24:25], v[198:199], v[212:213]
	s_waitcnt_vscnt null, 0x0
	s_barrier
	buffer_gl0_inv
	v_fma_f64 v[14:15], v[172:173], v[22:23], -v[14:15]
	v_fma_f64 v[16:17], v[174:175], v[22:23], v[16:17]
	v_add_f64 v[22:23], v[210:211], v[214:215]
	v_add_f64 v[32:33], v[24:25], v[216:217]
	v_add_f64 v[174:175], v[210:211], -v[214:215]
	v_add_f64 v[172:173], v[212:213], -v[216:217]
	s_delay_alu instid0(VALU_DEP_4) | instskip(SKIP_1) | instid1(VALU_DEP_1)
	v_fma_f64 v[27:28], v[22:23], -0.5, v[196:197]
	v_add_f64 v[22:23], v[212:213], v[216:217]
	v_fma_f64 v[110:111], v[22:23], -0.5, v[198:199]
	v_add_f64 v[22:23], v[196:197], v[210:211]
	s_delay_alu instid0(VALU_DEP_1) | instskip(SKIP_1) | instid1(VALU_DEP_1)
	v_add_f64 v[30:31], v[22:23], v[214:215]
	v_add_f64 v[22:23], v[202:203], v[42:43]
	;; [unrolled: 1-line block ×4, first 2 shown]
	s_delay_alu instid0(VALU_DEP_1) | instskip(NEXT) | instid1(VALU_DEP_3)
	v_add_f64 v[36:37], v[22:23], v[46:47]
	v_add_f64 v[22:23], v[30:31], v[34:35]
	v_add_f64 v[30:31], v[30:31], -v[34:35]
	v_add_f64 v[34:35], v[218:219], v[122:123]
	s_delay_alu instid0(VALU_DEP_4) | instskip(SKIP_2) | instid1(VALU_DEP_4)
	v_add_f64 v[24:25], v[32:33], v[36:37]
	v_add_f64 v[32:33], v[32:33], -v[36:37]
	v_add_f64 v[36:37], v[178:179], v[120:121]
	v_fma_f64 v[116:117], v[34:35], -0.5, v[176:177]
	v_add_f64 v[34:35], v[120:121], v[108:109]
	s_delay_alu instid0(VALU_DEP_3) | instskip(NEXT) | instid1(VALU_DEP_2)
	v_add_f64 v[40:41], v[36:37], v[108:109]
	v_fma_f64 v[118:119], v[34:35], -0.5, v[178:179]
	v_add_f64 v[34:35], v[176:177], v[218:219]
	v_fma_f64 v[178:179], v[174:175], s[10:11], v[110:111]
	v_fma_f64 v[110:111], v[174:175], s[12:13], v[110:111]
	;; [unrolled: 1-line block ×4, first 2 shown]
	v_add_f64 v[38:39], v[34:35], v[122:123]
	v_add_f64 v[34:35], v[206:207], v[50:51]
	s_delay_alu instid0(VALU_DEP_1) | instskip(SKIP_1) | instid1(VALU_DEP_1)
	v_add_f64 v[124:125], v[34:35], v[200:201]
	v_add_f64 v[34:35], v[208:209], v[53:54]
	v_add_f64 v[126:127], v[34:35], v[57:58]
	s_delay_alu instid0(VALU_DEP_3) | instskip(SKIP_2) | instid1(VALU_DEP_4)
	v_add_f64 v[34:35], v[38:39], v[124:125]
	v_add_f64 v[38:39], v[38:39], -v[124:125]
	v_add_f64 v[124:125], v[42:43], v[48:49]
	v_add_f64 v[36:37], v[40:41], v[126:127]
	v_add_f64 v[40:41], v[40:41], -v[126:127]
	v_add_f64 v[126:127], v[42:43], -v[48:49]
	v_add_f64 v[42:43], v[44:45], v[46:47]
	v_fma_f64 v[124:125], v[124:125], -0.5, v[202:203]
	s_delay_alu instid0(VALU_DEP_2) | instskip(NEXT) | instid1(VALU_DEP_2)
	v_fma_f64 v[128:129], v[42:43], -0.5, v[204:205]
	v_fma_f64 v[44:45], v[130:131], s[12:13], v[124:125]
	v_fma_f64 v[124:125], v[130:131], s[10:11], v[124:125]
	s_delay_alu instid0(VALU_DEP_3) | instskip(SKIP_1) | instid1(VALU_DEP_3)
	v_fma_f64 v[42:43], v[126:127], s[10:11], v[128:129]
	v_fma_f64 v[126:127], v[126:127], s[12:13], v[128:129]
	v_mul_f64 v[128:129], v[124:125], -0.5
	s_delay_alu instid0(VALU_DEP_3) | instskip(NEXT) | instid1(VALU_DEP_2)
	v_mul_f64 v[46:47], v[42:43], s[12:13]
	v_fma_f64 v[128:129], v[126:127], s[12:13], v[128:129]
	v_mul_f64 v[126:127], v[126:127], -0.5
	s_delay_alu instid0(VALU_DEP_3) | instskip(SKIP_1) | instid1(VALU_DEP_4)
	v_fma_f64 v[46:47], v[44:45], 0.5, v[46:47]
	v_mul_f64 v[44:45], v[44:45], s[10:11]
	v_add_f64 v[172:173], v[27:28], v[128:129]
	s_delay_alu instid0(VALU_DEP_4) | instskip(NEXT) | instid1(VALU_DEP_3)
	v_fma_f64 v[124:125], v[124:125], s[10:11], v[126:127]
	v_fma_f64 v[48:49], v[42:43], 0.5, v[44:45]
	v_add_f64 v[42:43], v[176:177], v[46:47]
	s_delay_alu instid0(VALU_DEP_3)
	v_add_f64 v[174:175], v[110:111], v[124:125]
	v_add_f64 v[46:47], v[176:177], -v[46:47]
	v_add_f64 v[176:177], v[27:28], -v[128:129]
	v_add_f64 v[27:28], v[50:51], v[200:201]
	v_add_f64 v[50:51], v[50:51], -v[200:201]
	v_add_f64 v[44:45], v[178:179], v[48:49]
	v_add_f64 v[48:49], v[178:179], -v[48:49]
	v_add_f64 v[178:179], v[110:111], -v[124:125]
	v_add_f64 v[110:111], v[53:54], v[57:58]
	v_add_f64 v[53:54], v[53:54], -v[57:58]
	v_add_f64 v[57:58], v[120:121], -v[108:109]
	v_fma_f64 v[27:28], v[27:28], -0.5, v[206:207]
	v_add_f64 v[108:109], v[218:219], -v[122:123]
	v_fma_f64 v[110:111], v[110:111], -0.5, v[208:209]
	s_delay_alu instid0(VALU_DEP_3) | instskip(SKIP_1) | instid1(VALU_DEP_4)
	v_fma_f64 v[122:123], v[53:54], s[12:13], v[27:28]
	v_fma_f64 v[27:28], v[53:54], s[10:11], v[27:28]
	;; [unrolled: 1-line block ×6, first 2 shown]
	s_delay_alu instid0(VALU_DEP_2) | instskip(NEXT) | instid1(VALU_DEP_1)
	v_mul_f64 v[124:125], v[120:121], s[12:13]
	v_fma_f64 v[124:125], v[122:123], 0.5, v[124:125]
	v_mul_f64 v[122:123], v[122:123], s[10:11]
	s_delay_alu instid0(VALU_DEP_1) | instskip(SKIP_3) | instid1(VALU_DEP_4)
	v_fma_f64 v[120:121], v[120:121], 0.5, v[122:123]
	v_fma_f64 v[122:123], v[57:58], s[12:13], v[116:117]
	v_fma_f64 v[57:58], v[108:109], s[12:13], v[118:119]
	v_mul_f64 v[108:109], v[27:28], -0.5
	v_add_f64 v[182:183], v[126:127], v[120:121]
	s_delay_alu instid0(VALU_DEP_4) | instskip(SKIP_1) | instid1(VALU_DEP_4)
	v_add_f64 v[180:181], v[122:123], v[124:125]
	v_add_f64 v[196:197], v[122:123], -v[124:125]
	v_fma_f64 v[108:109], v[50:51], s[12:13], v[108:109]
	v_mul_f64 v[50:51], v[50:51], -0.5
	v_add_f64 v[198:199], v[126:127], -v[120:121]
	s_delay_alu instid0(VALU_DEP_3) | instskip(NEXT) | instid1(VALU_DEP_3)
	v_add_f64 v[204:205], v[53:54], -v[108:109]
	v_fma_f64 v[27:28], v[27:28], s[10:11], v[50:51]
	v_add_f64 v[200:201], v[53:54], v[108:109]
	s_delay_alu instid0(VALU_DEP_2)
	v_add_f64 v[206:207], v[57:58], -v[27:28]
	v_add_f64 v[202:203], v[57:58], v[27:28]
	v_add_lshl_u32 v57, v26, v29, 4
	ds_store_b128 v57, v[22:25]
	ds_store_b128 v57, v[30:33] offset:864
	ds_store_b128 v57, v[42:45] offset:288
	;; [unrolled: 1-line block ×5, first 2 shown]
	ds_store_b128 v20, v[34:37]
	ds_store_b128 v20, v[180:183] offset:288
	ds_store_b128 v20, v[200:203] offset:576
	;; [unrolled: 1-line block ×4, first 2 shown]
	scratch_store_b32 off, v20, off offset:384 ; 4-byte Folded Spill
	ds_store_b128 v20, v[204:207] offset:1440
	v_add_f64 v[20:21], v[0:1], v[2:3]
	v_add_f64 v[22:23], v[6:7], -v[4:5]
	v_add_f64 v[24:25], v[18:19], -v[16:17]
	v_add_f64 v[30:31], v[12:13], -v[14:15]
	s_delay_alu instid0(VALU_DEP_4) | instskip(NEXT) | instid1(VALU_DEP_1)
	v_fma_f64 v[20:21], v[20:21], -0.5, v[8:9]
	v_fma_f64 v[34:35], v[22:23], s[10:11], v[20:21]
	v_fma_f64 v[28:29], v[22:23], s[12:13], v[20:21]
	v_add_f64 v[20:21], v[6:7], v[4:5]
	v_add_f64 v[22:23], v[0:1], -v[2:3]
	s_delay_alu instid0(VALU_DEP_2) | instskip(NEXT) | instid1(VALU_DEP_1)
	v_fma_f64 v[20:21], v[20:21], -0.5, v[10:11]
	v_fma_f64 v[32:33], v[22:23], s[10:11], v[20:21]
	v_fma_f64 v[36:37], v[22:23], s[12:13], v[20:21]
	v_add_f64 v[20:21], v[12:13], v[14:15]
	s_delay_alu instid0(VALU_DEP_1) | instskip(NEXT) | instid1(VALU_DEP_1)
	v_fma_f64 v[22:23], v[20:21], -0.5, v[168:169]
	v_fma_f64 v[20:21], v[24:25], s[12:13], v[22:23]
	v_fma_f64 v[24:25], v[24:25], s[10:11], v[22:23]
	v_add_f64 v[22:23], v[18:19], v[16:17]
	s_delay_alu instid0(VALU_DEP_1) | instskip(NEXT) | instid1(VALU_DEP_1)
	v_fma_f64 v[22:23], v[22:23], -0.5, v[170:171]
	v_fma_f64 v[26:27], v[30:31], s[10:11], v[22:23]
	v_fma_f64 v[30:31], v[30:31], s[12:13], v[22:23]
	v_mul_f64 v[22:23], v[32:33], s[12:13]
	s_delay_alu instid0(VALU_DEP_1) | instskip(SKIP_1) | instid1(VALU_DEP_2)
	v_fma_f64 v[22:23], v[28:29], 0.5, v[22:23]
	v_mul_f64 v[28:29], v[28:29], s[10:11]
	v_add_f64 v[240:241], v[20:21], -v[22:23]
	s_delay_alu instid0(VALU_DEP_2) | instskip(SKIP_1) | instid1(VALU_DEP_2)
	v_fma_f64 v[32:33], v[32:33], 0.5, v[28:29]
	v_mul_f64 v[28:29], v[34:35], -0.5
	v_add_f64 v[242:243], v[26:27], -v[32:33]
	s_delay_alu instid0(VALU_DEP_2) | instskip(SKIP_1) | instid1(VALU_DEP_2)
	v_fma_f64 v[28:29], v[36:37], s[12:13], v[28:29]
	v_mul_f64 v[36:37], v[36:37], -0.5
	v_add_f64 v[244:245], v[24:25], -v[28:29]
	s_delay_alu instid0(VALU_DEP_2)
	v_fma_f64 v[34:35], v[34:35], s[10:11], v[36:37]
	v_mad_u16 v36, 0x6c, v55, v59
	scratch_store_b32 off, v36, off offset:380 ; 4-byte Folded Spill
	v_add_f64 v[246:247], v[30:31], -v[34:35]
	s_and_saveexec_b32 s1, s0
	s_cbranch_execz .LBB0_15
; %bb.14:
	v_add_f64 v[18:19], v[170:171], v[18:19]
	v_add_f64 v[6:7], v[10:11], v[6:7]
	;; [unrolled: 1-line block ×4, first 2 shown]
	s_delay_alu instid0(VALU_DEP_4) | instskip(NEXT) | instid1(VALU_DEP_4)
	v_add_f64 v[12:13], v[18:19], v[16:17]
	v_add_f64 v[16:17], v[6:7], v[4:5]
	s_delay_alu instid0(VALU_DEP_4) | instskip(NEXT) | instid1(VALU_DEP_4)
	v_add_f64 v[18:19], v[10:11], v[14:15]
	v_add_f64 v[36:37], v[0:1], v[2:3]
	;; [unrolled: 1-line block ×7, first 2 shown]
	v_add_f64 v[14:15], v[12:13], -v[16:17]
	scratch_load_b32 v16, off, off offset:380 ; 4-byte Folded Reload
	v_add_f64 v[8:9], v[18:19], v[36:37]
	v_add_f64 v[12:13], v[18:19], -v[36:37]
	s_waitcnt vmcnt(0)
	v_and_b32_e32 v16, 0xffff, v16
	s_delay_alu instid0(VALU_DEP_1)
	v_lshlrev_b32_e32 v16, 4, v16
	ds_store_b128 v16, v[8:11]
	ds_store_b128 v16, v[4:7] offset:288
	ds_store_b128 v16, v[0:3] offset:576
	;; [unrolled: 1-line block ×5, first 2 shown]
.LBB0_15:
	s_or_b32 exec_lo, exec_lo, s1
	v_mad_u64_u32 v[8:9], null, 0xf0, v220, s[2:3]
	s_waitcnt lgkmcnt(0)
	s_waitcnt_vscnt null, 0x0
	s_barrier
	buffer_gl0_inv
	v_mov_b32_e32 v55, v220
	s_mov_b32 s2, 0x667f3bcd
	s_mov_b32 s3, 0xbfe6a09e
	s_clause 0x3
	global_load_b128 v[180:183], v[8:9], off offset:1680
	global_load_b128 v[176:179], v[8:9], off offset:1696
	;; [unrolled: 1-line block ×4, first 2 shown]
	ds_load_b128 v[0:3], v56 offset:1728
	ds_load_b128 v[4:7], v56 offset:3456
	s_clause 0xa
	global_load_b128 v[196:199], v[8:9], off offset:1744
	global_load_b128 v[200:203], v[8:9], off offset:1760
	;; [unrolled: 1-line block ×11, first 2 shown]
	s_mov_b32 s11, 0x3fe6a09e
	s_mov_b32 s10, s2
	;; [unrolled: 1-line block ×10, first 2 shown]
	s_waitcnt vmcnt(14) lgkmcnt(1)
	v_mul_f64 v[10:11], v[2:3], v[182:183]
	v_mul_f64 v[12:13], v[0:1], v[182:183]
	s_waitcnt vmcnt(13) lgkmcnt(0)
	v_mul_f64 v[14:15], v[6:7], v[178:179]
	v_mul_f64 v[16:17], v[4:5], v[178:179]
	s_delay_alu instid0(VALU_DEP_4) | instskip(NEXT) | instid1(VALU_DEP_4)
	v_fma_f64 v[10:11], v[0:1], v[180:181], -v[10:11]
	v_fma_f64 v[12:13], v[2:3], v[180:181], v[12:13]
	ds_load_b128 v[0:3], v56 offset:5184
	v_fma_f64 v[14:15], v[4:5], v[176:177], -v[14:15]
	v_fma_f64 v[16:17], v[6:7], v[176:177], v[16:17]
	s_waitcnt vmcnt(12) lgkmcnt(0)
	v_mul_f64 v[4:5], v[2:3], v[174:175]
	v_mul_f64 v[6:7], v[0:1], v[174:175]
	s_delay_alu instid0(VALU_DEP_2) | instskip(NEXT) | instid1(VALU_DEP_2)
	v_fma_f64 v[18:19], v[0:1], v[172:173], -v[4:5]
	v_fma_f64 v[20:21], v[2:3], v[172:173], v[6:7]
	ds_load_b128 v[0:3], v56 offset:6912
	s_waitcnt vmcnt(11) lgkmcnt(0)
	v_mul_f64 v[4:5], v[2:3], v[170:171]
	s_delay_alu instid0(VALU_DEP_1) | instskip(SKIP_1) | instid1(VALU_DEP_1)
	v_fma_f64 v[22:23], v[0:1], v[168:169], -v[4:5]
	v_mul_f64 v[0:1], v[0:1], v[170:171]
	v_fma_f64 v[24:25], v[2:3], v[168:169], v[0:1]
	ds_load_b128 v[0:3], v56 offset:8640
	s_waitcnt vmcnt(10) lgkmcnt(0)
	v_mul_f64 v[4:5], v[2:3], v[198:199]
	s_delay_alu instid0(VALU_DEP_1) | instskip(SKIP_1) | instid1(VALU_DEP_1)
	v_fma_f64 v[26:27], v[0:1], v[196:197], -v[4:5]
	v_mul_f64 v[0:1], v[0:1], v[198:199]
	;; [unrolled: 7-line block ×5, first 2 shown]
	v_fma_f64 v[40:41], v[2:3], v[208:209], v[0:1]
	ds_load_b128 v[0:3], v56 offset:15552
	s_waitcnt vmcnt(6) lgkmcnt(0)
	v_mul_f64 v[4:5], v[2:3], v[214:215]
	s_delay_alu instid0(VALU_DEP_1) | instskip(SKIP_1) | instid1(VALU_DEP_2)
	v_fma_f64 v[42:43], v[0:1], v[212:213], -v[4:5]
	v_mul_f64 v[0:1], v[0:1], v[214:215]
	v_add_f64 v[42:43], v[10:11], -v[42:43]
	s_delay_alu instid0(VALU_DEP_2) | instskip(SKIP_4) | instid1(VALU_DEP_2)
	v_fma_f64 v[44:45], v[2:3], v[212:213], v[0:1]
	ds_load_b128 v[0:3], v56 offset:17280
	s_waitcnt vmcnt(5) lgkmcnt(0)
	v_mul_f64 v[4:5], v[2:3], v[222:223]
	v_add_f64 v[44:45], v[12:13], -v[44:45]
	v_fma_f64 v[46:47], v[0:1], v[220:221], -v[4:5]
	v_mul_f64 v[0:1], v[0:1], v[222:223]
	s_delay_alu instid0(VALU_DEP_1) | instskip(SKIP_3) | instid1(VALU_DEP_1)
	v_fma_f64 v[48:49], v[2:3], v[220:221], v[0:1]
	ds_load_b128 v[0:3], v56 offset:19008
	s_waitcnt vmcnt(4) lgkmcnt(0)
	v_mul_f64 v[4:5], v[2:3], v[218:219]
	v_fma_f64 v[50:51], v[0:1], v[216:217], -v[4:5]
	v_mul_f64 v[0:1], v[0:1], v[218:219]
	s_delay_alu instid0(VALU_DEP_2) | instskip(NEXT) | instid1(VALU_DEP_2)
	v_add_f64 v[50:51], v[18:19], -v[50:51]
	v_fma_f64 v[53:54], v[2:3], v[216:217], v[0:1]
	ds_load_b128 v[0:3], v56 offset:20736
	s_waitcnt vmcnt(3) lgkmcnt(0)
	v_mul_f64 v[4:5], v[2:3], v[226:227]
	v_add_f64 v[53:54], v[20:21], -v[53:54]
	s_delay_alu instid0(VALU_DEP_2) | instskip(SKIP_1) | instid1(VALU_DEP_3)
	v_fma_f64 v[108:109], v[0:1], v[224:225], -v[4:5]
	v_mul_f64 v[0:1], v[0:1], v[226:227]
	v_fma_f64 v[20:21], v[20:21], 2.0, -v[53:54]
	s_delay_alu instid0(VALU_DEP_3) | instskip(NEXT) | instid1(VALU_DEP_3)
	v_add_f64 v[108:109], v[22:23], -v[108:109]
	v_fma_f64 v[110:111], v[2:3], v[224:225], v[0:1]
	ds_load_b128 v[0:3], v56 offset:22464
	s_waitcnt vmcnt(2) lgkmcnt(0)
	v_mul_f64 v[4:5], v[2:3], v[230:231]
	v_add_f64 v[110:111], v[24:25], -v[110:111]
	s_delay_alu instid0(VALU_DEP_2) | instskip(SKIP_1) | instid1(VALU_DEP_2)
	v_fma_f64 v[116:117], v[0:1], v[228:229], -v[4:5]
	v_mul_f64 v[0:1], v[0:1], v[230:231]
	v_add_f64 v[116:117], v[26:27], -v[116:117]
	s_delay_alu instid0(VALU_DEP_2) | instskip(SKIP_4) | instid1(VALU_DEP_2)
	v_fma_f64 v[118:119], v[2:3], v[228:229], v[0:1]
	ds_load_b128 v[0:3], v56 offset:24192
	s_waitcnt vmcnt(1) lgkmcnt(0)
	v_mul_f64 v[4:5], v[2:3], v[234:235]
	v_add_f64 v[118:119], v[28:29], -v[118:119]
	v_fma_f64 v[120:121], v[0:1], v[232:233], -v[4:5]
	v_mul_f64 v[0:1], v[0:1], v[234:235]
	s_delay_alu instid0(VALU_DEP_1) | instskip(SKIP_3) | instid1(VALU_DEP_1)
	v_fma_f64 v[122:123], v[2:3], v[232:233], v[0:1]
	ds_load_b128 v[0:3], v56 offset:25920
	s_waitcnt vmcnt(0) lgkmcnt(0)
	v_mul_f64 v[4:5], v[2:3], v[238:239]
	v_fma_f64 v[8:9], v[0:1], v[236:237], -v[4:5]
	v_mul_f64 v[0:1], v[0:1], v[238:239]
	ds_load_b128 v[4:7], v56
	v_fma_f64 v[124:125], v[2:3], v[236:237], v[0:1]
	s_waitcnt lgkmcnt(0)
	v_add_f64 v[0:1], v[4:5], -v[38:39]
	v_add_f64 v[2:3], v[6:7], -v[40:41]
	s_delay_alu instid0(VALU_DEP_2) | instskip(NEXT) | instid1(VALU_DEP_2)
	v_fma_f64 v[38:39], v[4:5], 2.0, -v[0:1]
	v_fma_f64 v[40:41], v[6:7], 2.0, -v[2:3]
	v_add_f64 v[4:5], v[14:15], -v[46:47]
	v_add_f64 v[6:7], v[16:17], -v[48:49]
	;; [unrolled: 1-line block ×6, first 2 shown]
	v_fma_f64 v[8:9], v[22:23], 2.0, -v[108:109]
	v_fma_f64 v[22:23], v[24:25], 2.0, -v[110:111]
	v_add_f64 v[110:111], v[0:1], -v[110:111]
	v_add_f64 v[108:109], v[2:3], v[108:109]
	v_fma_f64 v[24:25], v[14:15], 2.0, -v[4:5]
	v_fma_f64 v[124:125], v[16:17], 2.0, -v[6:7]
	;; [unrolled: 1-line block ×11, first 2 shown]
	v_add_f64 v[22:23], v[40:41], -v[22:23]
	v_add_f64 v[34:35], v[38:39], -v[8:9]
	;; [unrolled: 1-line block ×3, first 2 shown]
	v_add_f64 v[46:47], v[6:7], v[46:47]
	v_add_f64 v[116:117], v[44:45], v[116:117]
	;; [unrolled: 1-line block ×3, first 2 shown]
	v_add_f64 v[118:119], v[42:43], -v[118:119]
	v_add_f64 v[120:121], v[50:51], -v[120:121]
	;; [unrolled: 1-line block ×8, first 2 shown]
	v_add_f64 v[58:59], v[22:23], v[36:37]
	v_add_f64 v[254:255], v[34:35], -v[126:127]
	v_fma_f64 v[30:31], v[30:31], 2.0, -v[128:129]
	v_fma_f64 v[32:33], v[32:33], 2.0, -v[130:131]
	v_add_f64 v[14:15], v[130:131], v[28:29]
	v_add_f64 v[12:13], v[128:129], -v[252:253]
	v_fma_f64 v[20:21], v[20:21], 2.0, -v[252:253]
	v_fma_f64 v[26:27], v[26:27], 2.0, -v[28:29]
	;; [unrolled: 1-line block ×8, first 2 shown]
	v_fma_f64 v[10:11], v[14:15], s[10:11], v[58:59]
	v_fma_f64 v[8:9], v[12:13], s[10:11], v[254:255]
	v_fma_f64 v[16:17], v[128:129], 2.0, -v[12:13]
	v_add_f64 v[40:41], v[32:33], -v[20:21]
	v_add_f64 v[28:29], v[34:35], -v[22:23]
	;; [unrolled: 1-line block ×3, first 2 shown]
	v_fma_f64 v[10:11], v[12:13], s[10:11], v[10:11]
	v_fma_f64 v[12:13], v[130:131], 2.0, -v[14:15]
	v_fma_f64 v[8:9], v[14:15], s[2:3], v[8:9]
	v_fma_f64 v[14:15], v[16:17], s[2:3], v[60:61]
	v_add_f64 v[20:21], v[28:29], -v[40:41]
	s_delay_alu instid0(VALU_DEP_4)
	v_fma_f64 v[18:19], v[12:13], s[2:3], v[62:63]
	ds_store_b128 v56, v[8:11] offset:24192
	v_fma_f64 v[12:13], v[12:13], s[2:3], v[14:15]
	v_fma_f64 v[24:25], v[28:29], 2.0, -v[20:21]
	v_fma_f64 v[14:15], v[16:17], s[10:11], v[18:19]
	v_fma_f64 v[16:17], v[48:49], s[10:11], v[110:111]
	;; [unrolled: 1-line block ×3, first 2 shown]
	s_delay_alu instid0(VALU_DEP_2) | instskip(SKIP_1) | instid1(VALU_DEP_3)
	v_fma_f64 v[64:65], v[46:47], s[2:3], v[16:17]
	v_fma_f64 v[16:17], v[46:47], s[10:11], v[108:109]
	;; [unrolled: 1-line block ×3, first 2 shown]
	s_delay_alu instid0(VALU_DEP_3) | instskip(NEXT) | instid1(VALU_DEP_3)
	v_fma_f64 v[70:71], v[110:111], 2.0, -v[64:65]
	v_fma_f64 v[66:67], v[48:49], s[10:11], v[16:17]
	v_fma_f64 v[16:17], v[120:121], s[10:11], v[118:119]
	s_delay_alu instid0(VALU_DEP_2) | instskip(NEXT) | instid1(VALU_DEP_2)
	v_fma_f64 v[250:251], v[18:19], s[20:21], v[66:67]
	v_fma_f64 v[16:17], v[122:123], s[2:3], v[16:17]
	v_fma_f64 v[72:73], v[108:109], 2.0, -v[66:67]
	s_delay_alu instid0(VALU_DEP_2) | instskip(NEXT) | instid1(VALU_DEP_4)
	v_fma_f64 v[248:249], v[16:17], s[20:21], v[64:65]
	v_fma_f64 v[250:251], v[16:17], s[18:19], v[250:251]
	v_fma_f64 v[68:69], v[118:119], 2.0, -v[16:17]
	v_fma_f64 v[16:17], v[116:117], 2.0, -v[18:19]
	s_delay_alu instid0(VALU_DEP_4) | instskip(NEXT) | instid1(VALU_DEP_3)
	v_fma_f64 v[248:249], v[18:19], s[14:15], v[248:249]
	v_fma_f64 v[18:19], v[68:69], s[14:15], v[70:71]
	s_delay_alu instid0(VALU_DEP_3) | instskip(NEXT) | instid1(VALU_DEP_2)
	v_fma_f64 v[74:75], v[16:17], s[14:15], v[72:73]
	v_fma_f64 v[16:17], v[16:17], s[12:13], v[18:19]
	s_delay_alu instid0(VALU_DEP_2) | instskip(SKIP_1) | instid1(VALU_DEP_1)
	v_fma_f64 v[18:19], v[68:69], s[20:21], v[74:75]
	v_add_f64 v[68:69], v[30:31], -v[26:27]
	v_add_f64 v[22:23], v[36:37], v[68:69]
	s_delay_alu instid0(VALU_DEP_1)
	v_fma_f64 v[26:27], v[36:37], 2.0, -v[22:23]
	ds_store_b128 v56, v[20:23] offset:20736
	v_fma_f64 v[20:21], v[254:255], 2.0, -v[8:9]
	v_fma_f64 v[22:23], v[58:59], 2.0, -v[10:11]
	;; [unrolled: 1-line block ×10, first 2 shown]
	ds_store_b128 v56, v[24:27] offset:6912
	ds_store_b128 v56, v[20:23] offset:10368
	v_fma_f64 v[20:21], v[34:35], 2.0, -v[28:29]
	v_fma_f64 v[22:23], v[38:39], 2.0, -v[36:37]
	v_fma_f64 v[44:45], v[10:11], s[2:3], v[8:9]
	v_lshlrev_b32_e32 v34, 4, v55
	ds_store_b128 v56, v[12:15] offset:17280
	ds_store_b128 v56, v[16:19] offset:19008
	v_fma_f64 v[44:45], v[6:7], s[2:3], v[44:45]
	v_fma_f64 v[6:7], v[6:7], s[2:3], v[4:5]
	s_delay_alu instid0(VALU_DEP_2) | instskip(NEXT) | instid1(VALU_DEP_2)
	v_fma_f64 v[8:9], v[8:9], 2.0, -v[44:45]
	v_fma_f64 v[6:7], v[10:11], s[10:11], v[6:7]
	v_fma_f64 v[10:11], v[2:3], s[2:3], v[50:51]
	s_delay_alu instid0(VALU_DEP_2) | instskip(NEXT) | instid1(VALU_DEP_2)
	v_fma_f64 v[4:5], v[4:5], 2.0, -v[6:7]
	v_fma_f64 v[46:47], v[0:1], s[10:11], v[10:11]
	v_fma_f64 v[0:1], v[0:1], s[2:3], v[42:43]
	s_delay_alu instid0(VALU_DEP_1) | instskip(NEXT) | instid1(VALU_DEP_3)
	v_fma_f64 v[48:49], v[2:3], s[2:3], v[0:1]
	v_fma_f64 v[0:1], v[6:7], s[18:19], v[46:47]
	s_add_u32 s2, s16, 0x6c00
	s_addc_u32 s3, s17, 0
	s_delay_alu instid0(VALU_DEP_2) | instskip(NEXT) | instid1(VALU_DEP_2)
	v_fma_f64 v[10:11], v[44:45], s[18:19], v[48:49]
	v_fma_f64 v[2:3], v[44:45], s[20:21], v[0:1]
	v_fma_f64 v[42:43], v[42:43], 2.0, -v[48:49]
	v_fma_f64 v[44:45], v[50:51], 2.0, -v[46:47]
	s_delay_alu instid0(VALU_DEP_4) | instskip(NEXT) | instid1(VALU_DEP_3)
	v_fma_f64 v[0:1], v[6:7], s[12:13], v[10:11]
	v_fma_f64 v[6:7], v[8:9], s[12:13], v[42:43]
	s_delay_alu instid0(VALU_DEP_3) | instskip(NEXT) | instid1(VALU_DEP_2)
	v_fma_f64 v[10:11], v[4:5], s[12:13], v[44:45]
	v_fma_f64 v[4:5], v[4:5], s[14:15], v[6:7]
	s_delay_alu instid0(VALU_DEP_2)
	v_fma_f64 v[6:7], v[8:9], s[18:19], v[10:11]
	v_fma_f64 v[8:9], v[64:65], 2.0, -v[248:249]
	v_fma_f64 v[10:11], v[66:67], 2.0, -v[250:251]
	ds_store_b128 v56, v[8:11] offset:12096
	v_fma_f64 v[8:9], v[30:31], 2.0, -v[68:69]
	v_fma_f64 v[10:11], v[32:33], 2.0, -v[40:41]
	s_delay_alu instid0(VALU_DEP_2) | instskip(NEXT) | instid1(VALU_DEP_2)
	v_add_f64 v[8:9], v[20:21], -v[8:9]
	v_add_f64 v[10:11], v[22:23], -v[10:11]
	s_delay_alu instid0(VALU_DEP_2) | instskip(NEXT) | instid1(VALU_DEP_2)
	v_fma_f64 v[20:21], v[20:21], 2.0, -v[8:9]
	v_fma_f64 v[22:23], v[22:23], 2.0, -v[10:11]
	ds_store_b128 v56, v[8:11] offset:13824
	v_fma_f64 v[8:9], v[60:61], 2.0, -v[12:13]
	v_fma_f64 v[10:11], v[62:63], 2.0, -v[14:15]
	v_fma_f64 v[12:13], v[70:71], 2.0, -v[16:17]
	v_fma_f64 v[14:15], v[72:73], 2.0, -v[18:19]
	v_fma_f64 v[16:17], v[48:49], 2.0, -v[0:1]
	v_fma_f64 v[18:19], v[46:47], 2.0, -v[2:3]
	ds_store_b128 v56, v[0:3] offset:22464
	ds_store_b128 v56, v[20:23]
	ds_store_b128 v56, v[8:11] offset:3456
	ds_store_b128 v56, v[12:15] offset:5184
	;; [unrolled: 1-line block ×3, first 2 shown]
	v_fma_f64 v[0:1], v[42:43], 2.0, -v[4:5]
	v_fma_f64 v[2:3], v[44:45], 2.0, -v[6:7]
	ds_store_b128 v56, v[4:7] offset:15552
	ds_store_b128 v56, v[0:3] offset:1728
	;; [unrolled: 1-line block ×3, first 2 shown]
	s_waitcnt lgkmcnt(0)
	s_barrier
	buffer_gl0_inv
	global_load_b128 v[0:3], v34, s[2:3]
	ds_load_b128 v[4:7], v56
	ds_load_b128 v[22:25], v56 offset:1728
	v_add_co_u32 v20, s1, s2, v34
	s_delay_alu instid0(VALU_DEP_1) | instskip(SKIP_3) | instid1(VALU_DEP_1)
	v_add_co_ci_u32_e64 v21, null, s3, 0, s1
	ds_load_b128 v[10:13], v56 offset:18432
	ds_load_b128 v[26:29], v56 offset:20160
	v_add_co_u32 v16, s1, 0x2000, v20
	v_add_co_ci_u32_e64 v17, s1, 0, v21, s1
	ds_load_b128 v[44:47], v56 offset:21888
	ds_load_b128 v[116:119], v56 offset:23616
	scratch_store_b32 off, v55, off offset:164 ; 4-byte Folded Spill
	ds_load_b128 v[108:111], v56 offset:14400
	ds_load_b128 v[124:127], v56 offset:16128
	ds_load_b128 v[128:131], v56 offset:25344
	ds_load_b128 v[120:123], v56 offset:6912
	ds_load_b128 v[38:41], v56 offset:12672
	s_waitcnt vmcnt(0) lgkmcnt(10)
	v_mul_f64 v[8:9], v[6:7], v[2:3]
	v_mul_f64 v[2:3], v[4:5], v[2:3]
	s_delay_alu instid0(VALU_DEP_2) | instskip(NEXT) | instid1(VALU_DEP_2)
	v_fma_f64 v[252:253], v[4:5], v[0:1], -v[8:9]
	v_fma_f64 v[254:255], v[6:7], v[0:1], v[2:3]
	global_load_b128 v[2:5], v[16:17], off offset:1024
	ds_load_b128 v[6:9], v56 offset:9216
	s_waitcnt vmcnt(0) lgkmcnt(0)
	v_mul_f64 v[0:1], v[8:9], v[4:5]
	v_mul_f64 v[4:5], v[6:7], v[4:5]
	s_delay_alu instid0(VALU_DEP_2) | instskip(NEXT) | instid1(VALU_DEP_2)
	v_fma_f64 v[0:1], v[6:7], v[2:3], -v[0:1]
	v_fma_f64 v[2:3], v[8:9], v[2:3], v[4:5]
	global_load_b128 v[6:9], v52, s[2:3]
	ds_load_b128 v[50:53], v56 offset:5184
	s_waitcnt vmcnt(0)
	v_mul_f64 v[4:5], v[12:13], v[8:9]
	v_mul_f64 v[8:9], v[10:11], v[8:9]
	s_delay_alu instid0(VALU_DEP_2) | instskip(NEXT) | instid1(VALU_DEP_2)
	v_fma_f64 v[4:5], v[10:11], v[6:7], -v[4:5]
	v_fma_f64 v[6:7], v[12:13], v[6:7], v[8:9]
	global_load_b128 v[10:13], v34, s[2:3] offset:1728
	s_waitcnt vmcnt(0)
	v_mul_f64 v[8:9], v[24:25], v[12:13]
	v_mul_f64 v[12:13], v[22:23], v[12:13]
	s_delay_alu instid0(VALU_DEP_2) | instskip(NEXT) | instid1(VALU_DEP_2)
	v_fma_f64 v[8:9], v[22:23], v[10:11], -v[8:9]
	v_fma_f64 v[10:11], v[24:25], v[10:11], v[12:13]
	global_load_b128 v[22:25], v[16:17], off offset:2752
	ds_load_b128 v[12:15], v56 offset:10944
	s_waitcnt vmcnt(0) lgkmcnt(0)
	v_mul_f64 v[18:19], v[14:15], v[24:25]
	v_mul_f64 v[24:25], v[12:13], v[24:25]
	s_delay_alu instid0(VALU_DEP_2) | instskip(SKIP_1) | instid1(VALU_DEP_1)
	v_fma_f64 v[12:13], v[12:13], v[22:23], -v[18:19]
	v_add_co_u32 v18, s1, 0x4000, v20
	v_add_co_ci_u32_e64 v19, s1, 0, v21, s1
	s_delay_alu instid0(VALU_DEP_4) | instskip(SKIP_4) | instid1(VALU_DEP_2)
	v_fma_f64 v[14:15], v[14:15], v[22:23], v[24:25]
	global_load_b128 v[22:25], v[18:19], off offset:3776
	s_waitcnt vmcnt(0)
	v_mul_f64 v[30:31], v[28:29], v[24:25]
	v_mul_f64 v[32:33], v[26:27], v[24:25]
	v_fma_f64 v[24:25], v[26:27], v[22:23], -v[30:31]
	s_delay_alu instid0(VALU_DEP_2)
	v_fma_f64 v[26:27], v[28:29], v[22:23], v[32:33]
	global_load_b128 v[28:31], v34, s[2:3] offset:3456
	ds_load_b128 v[32:35], v56 offset:3456
	s_waitcnt vmcnt(0) lgkmcnt(0)
	v_mul_f64 v[22:23], v[34:35], v[30:31]
	v_mul_f64 v[36:37], v[32:33], v[30:31]
	s_delay_alu instid0(VALU_DEP_2) | instskip(SKIP_1) | instid1(VALU_DEP_1)
	v_fma_f64 v[30:31], v[32:33], v[28:29], -v[22:23]
	v_add_co_u32 v22, s1, 0x3000, v20
	v_add_co_ci_u32_e64 v23, s1, 0, v21, s1
	s_delay_alu instid0(VALU_DEP_4) | instskip(SKIP_4) | instid1(VALU_DEP_2)
	v_fma_f64 v[32:33], v[34:35], v[28:29], v[36:37]
	global_load_b128 v[34:37], v[22:23], off offset:384
	s_waitcnt vmcnt(0)
	v_mul_f64 v[28:29], v[40:41], v[36:37]
	v_mul_f64 v[42:43], v[38:39], v[36:37]
	v_fma_f64 v[36:37], v[38:39], v[34:35], -v[28:29]
	v_add_co_u32 v28, s1, 0x5000, v20
	s_delay_alu instid0(VALU_DEP_1) | instskip(NEXT) | instid1(VALU_DEP_4)
	v_add_co_ci_u32_e64 v29, s1, 0, v21, s1
	v_fma_f64 v[38:39], v[40:41], v[34:35], v[42:43]
	global_load_b128 v[40:43], v[28:29], off offset:1408
	s_waitcnt vmcnt(0)
	v_mul_f64 v[34:35], v[46:47], v[42:43]
	v_mul_f64 v[48:49], v[44:45], v[42:43]
	s_delay_alu instid0(VALU_DEP_2) | instskip(SKIP_1) | instid1(VALU_DEP_1)
	v_fma_f64 v[42:43], v[44:45], v[40:41], -v[34:35]
	v_add_co_u32 v34, s1, 0x1000, v20
	v_add_co_ci_u32_e64 v35, s1, 0, v21, s1
	s_delay_alu instid0(VALU_DEP_4)
	v_fma_f64 v[44:45], v[46:47], v[40:41], v[48:49]
	v_add_co_u32 v20, s1, 0x6000, v20
	global_load_b128 v[46:49], v[34:35], off offset:1088
	v_add_co_ci_u32_e64 v21, s1, 0, v21, s1
	s_waitcnt vmcnt(0)
	v_mul_f64 v[40:41], v[52:53], v[48:49]
	v_mul_f64 v[54:55], v[50:51], v[48:49]
	s_delay_alu instid0(VALU_DEP_2) | instskip(NEXT) | instid1(VALU_DEP_2)
	v_fma_f64 v[48:49], v[50:51], v[46:47], -v[40:41]
	v_fma_f64 v[50:51], v[52:53], v[46:47], v[54:55]
	global_load_b128 v[52:55], v[22:23], off offset:2112
	s_waitcnt vmcnt(0)
	v_mul_f64 v[40:41], v[110:111], v[54:55]
	v_mul_f64 v[46:47], v[108:109], v[54:55]
	s_delay_alu instid0(VALU_DEP_2) | instskip(NEXT) | instid1(VALU_DEP_2)
	v_fma_f64 v[108:109], v[108:109], v[52:53], -v[40:41]
	v_fma_f64 v[110:111], v[110:111], v[52:53], v[46:47]
	global_load_b128 v[52:55], v[28:29], off offset:3136
	;; [unrolled: 7-line block ×5, first 2 shown]
	s_waitcnt vmcnt(0)
	v_mul_f64 v[22:23], v[130:131], v[54:55]
	v_mul_f64 v[28:29], v[128:129], v[54:55]
	s_delay_alu instid0(VALU_DEP_2) | instskip(NEXT) | instid1(VALU_DEP_2)
	v_fma_f64 v[128:129], v[128:129], v[52:53], -v[22:23]
	v_fma_f64 v[130:131], v[130:131], v[52:53], v[28:29]
	ds_store_b128 v56, v[252:255]
	ds_store_b128 v56, v[0:3] offset:9216
	ds_store_b128 v56, v[4:7] offset:18432
	;; [unrolled: 1-line block ×14, first 2 shown]
	s_and_saveexec_b32 s1, vcc_lo
	s_cbranch_execz .LBB0_17
; %bb.16:
	s_clause 0x2
	global_load_b128 v[0:3], v[16:17], off offset:448
	global_load_b128 v[4:7], v[18:19], off offset:1472
	;; [unrolled: 1-line block ×3, first 2 shown]
	ds_load_b128 v[12:15], v56 offset:8640
	ds_load_b128 v[16:19], v56 offset:17856
	;; [unrolled: 1-line block ×3, first 2 shown]
	s_waitcnt vmcnt(2) lgkmcnt(2)
	v_mul_f64 v[24:25], v[14:15], v[2:3]
	v_mul_f64 v[2:3], v[12:13], v[2:3]
	s_waitcnt vmcnt(1) lgkmcnt(1)
	v_mul_f64 v[26:27], v[18:19], v[6:7]
	v_mul_f64 v[6:7], v[16:17], v[6:7]
	;; [unrolled: 3-line block ×3, first 2 shown]
	v_fma_f64 v[12:13], v[12:13], v[0:1], -v[24:25]
	v_fma_f64 v[14:15], v[14:15], v[0:1], v[2:3]
	v_fma_f64 v[0:1], v[16:17], v[4:5], -v[26:27]
	v_fma_f64 v[2:3], v[18:19], v[4:5], v[6:7]
	;; [unrolled: 2-line block ×3, first 2 shown]
	ds_store_b128 v56, v[12:15] offset:8640
	ds_store_b128 v56, v[0:3] offset:17856
	;; [unrolled: 1-line block ×3, first 2 shown]
.LBB0_17:
	s_or_b32 exec_lo, exec_lo, s1
	s_waitcnt lgkmcnt(0)
	s_waitcnt_vscnt null, 0x0
	s_barrier
	buffer_gl0_inv
	ds_load_b128 v[20:23], v56
	ds_load_b128 v[16:19], v56 offset:1728
	ds_load_b128 v[48:51], v56 offset:18432
	;; [unrolled: 1-line block ×14, first 2 shown]
	s_and_saveexec_b32 s1, vcc_lo
	s_cbranch_execz .LBB0_19
; %bb.18:
	ds_load_b128 v[248:251], v56 offset:8640
	ds_load_b128 v[240:243], v56 offset:17856
	;; [unrolled: 1-line block ×3, first 2 shown]
.LBB0_19:
	s_or_b32 exec_lo, exec_lo, s1
	s_waitcnt lgkmcnt(4)
	v_add_f64 v[60:61], v[22:23], v[54:55]
	v_add_f64 v[64:65], v[54:55], v[50:51]
	v_add_f64 v[54:55], v[54:55], -v[50:51]
	v_add_f64 v[68:69], v[46:47], v[42:43]
	v_add_f64 v[72:73], v[34:35], v[254:255]
	v_add_f64 v[74:75], v[34:35], -v[254:255]
	v_add_f64 v[58:59], v[20:21], v[52:53]
	v_add_f64 v[62:63], v[52:53], v[48:49]
	v_add_f64 v[52:53], v[52:53], -v[48:49]
	s_waitcnt lgkmcnt(2)
	v_add_f64 v[116:117], v[38:39], v[30:31]
	s_waitcnt lgkmcnt(0)
	v_add_f64 v[120:121], v[26:27], v[14:15]
	v_add_f64 v[122:123], v[26:27], -v[14:15]
	s_mov_b32 s2, 0xe8584caa
	s_mov_b32 s3, 0xbfebb67a
	;; [unrolled: 1-line block ×4, first 2 shown]
	s_barrier
	buffer_gl0_inv
	v_add_f64 v[66:67], v[44:45], v[40:41]
	v_add_f64 v[70:71], v[32:33], v[252:253]
	v_add_f64 v[108:109], v[32:33], -v[252:253]
	v_add_f64 v[110:111], v[36:37], v[28:29]
	v_add_f64 v[118:119], v[24:25], v[12:13]
	v_add_f64 v[124:125], v[24:25], -v[12:13]
	v_add_f64 v[126:127], v[242:243], -v[246:247]
	;; [unrolled: 1-line block ×3, first 2 shown]
	v_add_f64 v[50:51], v[60:61], v[50:51]
	v_add_f64 v[60:61], v[18:19], v[46:47]
	v_add_f64 v[46:47], v[46:47], -v[42:43]
	v_add_f64 v[48:49], v[58:59], v[48:49]
	v_add_f64 v[58:59], v[16:17], v[44:45]
	v_add_f64 v[44:45], v[44:45], -v[40:41]
	v_add_f64 v[42:43], v[60:61], v[42:43]
	v_add_f64 v[60:61], v[10:11], v[34:35]
	s_delay_alu instid0(VALU_DEP_4) | instskip(SKIP_1) | instid1(VALU_DEP_3)
	v_add_f64 v[40:41], v[58:59], v[40:41]
	v_add_f64 v[58:59], v[8:9], v[32:33]
	;; [unrolled: 1-line block ×4, first 2 shown]
	v_add_f64 v[38:39], v[38:39], -v[30:31]
	v_fma_f64 v[2:3], v[116:117], -0.5, v[2:3]
	v_add_f64 v[32:33], v[58:59], v[252:253]
	v_add_f64 v[58:59], v[0:1], v[36:37]
	v_add_f64 v[36:37], v[36:37], -v[28:29]
	v_fma_f64 v[0:1], v[110:111], -0.5, v[0:1]
	v_add_f64 v[30:31], v[60:61], v[30:31]
	v_add_f64 v[60:61], v[6:7], v[26:27]
	v_fma_f64 v[26:27], v[64:65], -0.5, v[22:23]
	v_add_f64 v[28:29], v[58:59], v[28:29]
	v_add_f64 v[58:59], v[4:5], v[24:25]
	v_fma_f64 v[24:25], v[62:63], -0.5, v[20:21]
	v_add_f64 v[254:255], v[60:61], v[14:15]
	v_fma_f64 v[22:23], v[52:53], s[10:11], v[26:27]
	v_fma_f64 v[26:27], v[52:53], s[2:3], v[26:27]
	scratch_load_b32 v52, off, off offset:332 ; 4-byte Folded Reload
	v_add_f64 v[60:61], v[242:243], v[246:247]
	v_add_f64 v[14:15], v[250:251], v[242:243]
	;; [unrolled: 1-line block ×3, first 2 shown]
	v_fma_f64 v[20:21], v[54:55], s[2:3], v[24:25]
	v_fma_f64 v[24:25], v[54:55], s[10:11], v[24:25]
	v_add_f64 v[58:59], v[240:241], v[244:245]
	v_add_f64 v[12:13], v[248:249], v[240:241]
	s_waitcnt vmcnt(0)
	ds_store_b128 v52, v[48:51]
	ds_store_b128 v52, v[20:23] offset:16
	ds_store_b128 v52, v[24:27] offset:32
	scratch_load_b32 v24, off, off offset:328 ; 4-byte Folded Reload
	v_fma_f64 v[20:21], v[66:67], -0.5, v[16:17]
	v_fma_f64 v[22:23], v[68:69], -0.5, v[18:19]
	v_add_f64 v[12:13], v[12:13], v[244:245]
	v_add_f64 v[14:15], v[14:15], v[246:247]
	s_delay_alu instid0(VALU_DEP_4) | instskip(NEXT) | instid1(VALU_DEP_4)
	v_fma_f64 v[16:17], v[46:47], s[2:3], v[20:21]
	v_fma_f64 v[18:19], v[44:45], s[10:11], v[22:23]
	;; [unrolled: 1-line block ×4, first 2 shown]
	s_waitcnt vmcnt(0)
	ds_store_b128 v24, v[40:43]
	ds_store_b128 v24, v[16:19] offset:16
	ds_store_b128 v24, v[20:23] offset:32
	scratch_load_b32 v20, off, off offset:324 ; 4-byte Folded Reload
	v_fma_f64 v[16:17], v[70:71], -0.5, v[8:9]
	v_fma_f64 v[18:19], v[72:73], -0.5, v[10:11]
	v_fma_f64 v[22:23], v[60:61], -0.5, v[250:251]
	s_delay_alu instid0(VALU_DEP_3) | instskip(NEXT) | instid1(VALU_DEP_3)
	v_fma_f64 v[8:9], v[74:75], s[2:3], v[16:17]
	v_fma_f64 v[10:11], v[108:109], s[10:11], v[18:19]
	;; [unrolled: 1-line block ×5, first 2 shown]
	s_waitcnt vmcnt(0)
	ds_store_b128 v20, v[32:35]
	ds_store_b128 v20, v[8:11] offset:16
	ds_store_b128 v20, v[16:19] offset:32
	v_fma_f64 v[20:21], v[58:59], -0.5, v[248:249]
	v_fma_f64 v[10:11], v[120:121], -0.5, v[6:7]
	v_fma_f64 v[6:7], v[36:37], s[10:11], v[2:3]
	v_fma_f64 v[18:19], v[36:37], s[2:3], v[2:3]
	v_fma_f64 v[8:9], v[118:119], -0.5, v[4:5]
	v_fma_f64 v[4:5], v[38:39], s[2:3], v[0:1]
	v_fma_f64 v[16:17], v[38:39], s[10:11], v[0:1]
	;; [unrolled: 1-line block ×5, first 2 shown]
	scratch_load_b32 v20, off, off offset:316 ; 4-byte Folded Reload
	v_fma_f64 v[2:3], v[124:125], s[10:11], v[10:11]
	v_fma_f64 v[0:1], v[122:123], s[2:3], v[8:9]
	v_fma_f64 v[8:9], v[122:123], s[10:11], v[8:9]
	v_fma_f64 v[10:11], v[124:125], s[2:3], v[10:11]
	s_waitcnt vmcnt(0)
	ds_store_b128 v20, v[28:31]
	ds_store_b128 v20, v[4:7] offset:16
	ds_store_b128 v20, v[16:19] offset:32
	scratch_load_b32 v4, off, off offset:280 ; 4-byte Folded Reload
	s_waitcnt vmcnt(0)
	ds_store_b128 v4, v[252:255]
	ds_store_b128 v4, v[0:3] offset:16
	ds_store_b128 v4, v[8:11] offset:32
	s_and_saveexec_b32 s1, vcc_lo
	s_cbranch_execz .LBB0_21
; %bb.20:
	scratch_load_b32 v4, off, off offset:320 ; 4-byte Folded Reload
	s_waitcnt vmcnt(0)
	v_lshlrev_b32_e32 v4, 4, v4
	ds_store_b128 v4, v[12:15]
	ds_store_b128 v4, v[244:247] offset:16
	ds_store_b128 v4, v[36:39] offset:32
.LBB0_21:
	s_or_b32 exec_lo, exec_lo, s1
	s_waitcnt lgkmcnt(0)
	s_barrier
	buffer_gl0_inv
	ds_load_b128 v[4:7], v56
	ds_load_b128 v[240:243], v56 offset:1728
	ds_load_b128 v[24:27], v56 offset:4608
	;; [unrolled: 1-line block ×11, first 2 shown]
	s_and_saveexec_b32 s1, s0
	s_cbranch_execz .LBB0_23
; %bb.22:
	ds_load_b128 v[252:255], v56 offset:3456
	ds_load_b128 v[0:3], v56 offset:8064
	;; [unrolled: 1-line block ×6, first 2 shown]
.LBB0_23:
	s_or_b32 exec_lo, exec_lo, s1
	scratch_load_b128 v[60:63], off, off offset:352 ; 16-byte Folded Reload
	s_mov_b32 s10, 0xe8584caa
	s_mov_b32 s11, 0xbfebb67a
	s_mov_b32 s3, 0x3febb67a
	s_mov_b32 s2, s10
	s_waitcnt vmcnt(0) lgkmcnt(5)
	v_mul_f64 v[58:59], v[62:63], v[48:49]
	s_delay_alu instid0(VALU_DEP_1) | instskip(SKIP_1) | instid1(VALU_DEP_1)
	v_fma_f64 v[58:59], v[60:61], v[50:51], -v[58:59]
	v_mul_f64 v[50:51], v[62:63], v[50:51]
	v_fma_f64 v[48:49], v[60:61], v[48:49], v[50:51]
	s_waitcnt lgkmcnt(1)
	v_mul_f64 v[50:51], v[86:87], v[52:53]
	scratch_load_b128 v[60:63], off, off offset:336 ; 16-byte Folded Reload
	v_fma_f64 v[50:51], v[84:85], v[54:55], -v[50:51]
	v_mul_f64 v[54:55], v[86:87], v[54:55]
	s_delay_alu instid0(VALU_DEP_1) | instskip(SKIP_1) | instid1(VALU_DEP_1)
	v_fma_f64 v[52:53], v[84:85], v[52:53], v[54:55]
	v_mul_f64 v[54:55], v[78:79], v[40:41]
	v_fma_f64 v[54:55], v[76:77], v[42:43], -v[54:55]
	v_mul_f64 v[42:43], v[78:79], v[42:43]
	s_delay_alu instid0(VALU_DEP_1) | instskip(SKIP_2) | instid1(VALU_DEP_1)
	v_fma_f64 v[40:41], v[76:77], v[40:41], v[42:43]
	s_waitcnt lgkmcnt(0)
	v_mul_f64 v[42:43], v[82:83], v[44:45]
	v_fma_f64 v[42:43], v[80:81], v[46:47], -v[42:43]
	v_mul_f64 v[46:47], v[82:83], v[46:47]
	s_delay_alu instid0(VALU_DEP_1) | instskip(SKIP_1) | instid1(VALU_DEP_1)
	v_fma_f64 v[44:45], v[80:81], v[44:45], v[46:47]
	v_mul_f64 v[46:47], v[134:135], v[12:13]
	v_fma_f64 v[46:47], v[132:133], v[14:15], -v[46:47]
	v_mul_f64 v[14:15], v[134:135], v[14:15]
	s_delay_alu instid0(VALU_DEP_1) | instskip(SKIP_3) | instid1(VALU_DEP_2)
	v_fma_f64 v[68:69], v[132:133], v[12:13], v[14:15]
	v_mul_f64 v[12:13], v[138:139], v[36:37]
	s_waitcnt vmcnt(0)
	v_mul_f64 v[14:15], v[62:63], v[28:29]
	v_fma_f64 v[70:71], v[136:137], v[38:39], -v[12:13]
	v_mul_f64 v[12:13], v[138:139], v[38:39]
	s_delay_alu instid0(VALU_DEP_3) | instskip(NEXT) | instid1(VALU_DEP_2)
	v_fma_f64 v[14:15], v[60:61], v[30:31], -v[14:15]
	v_fma_f64 v[36:37], v[136:137], v[36:37], v[12:13]
	v_mul_f64 v[12:13], v[62:63], v[30:31]
	v_mul_f64 v[30:31], v[98:99], v[32:33]
	s_delay_alu instid0(VALU_DEP_2) | instskip(SKIP_3) | instid1(VALU_DEP_2)
	v_fma_f64 v[12:13], v[60:61], v[28:29], v[12:13]
	scratch_load_b128 v[60:63], off, off offset:284 ; 16-byte Folded Reload
	v_mul_f64 v[28:29], v[98:99], v[34:35]
	v_fma_f64 v[30:31], v[96:97], v[34:35], -v[30:31]
	v_fma_f64 v[28:29], v[96:97], v[32:33], v[28:29]
	s_waitcnt vmcnt(0)
	v_mul_f64 v[32:33], v[62:63], v[24:25]
	s_delay_alu instid0(VALU_DEP_1) | instskip(SKIP_1) | instid1(VALU_DEP_1)
	v_fma_f64 v[32:33], v[60:61], v[26:27], -v[32:33]
	v_mul_f64 v[26:27], v[62:63], v[26:27]
	v_fma_f64 v[24:25], v[60:61], v[24:25], v[26:27]
	v_mul_f64 v[26:27], v[90:91], v[18:19]
	s_delay_alu instid0(VALU_DEP_1) | instskip(SKIP_1) | instid1(VALU_DEP_1)
	v_fma_f64 v[26:27], v[88:89], v[16:17], v[26:27]
	v_mul_f64 v[16:17], v[90:91], v[16:17]
	v_fma_f64 v[34:35], v[88:89], v[18:19], -v[16:17]
	v_mul_f64 v[16:17], v[94:95], v[22:23]
	s_delay_alu instid0(VALU_DEP_1)
	v_fma_f64 v[38:39], v[92:93], v[20:21], v[16:17]
	v_mul_f64 v[16:17], v[94:95], v[20:21]
	scratch_load_b128 v[18:21], off, off offset:300 ; 16-byte Folded Reload
	s_waitcnt vmcnt(0)
	s_barrier
	buffer_gl0_inv
	v_fma_f64 v[72:73], v[92:93], v[22:23], -v[16:17]
	v_mul_f64 v[16:17], v[20:21], v[248:249]
	s_delay_alu instid0(VALU_DEP_1) | instskip(SKIP_2) | instid1(VALU_DEP_2)
	v_fma_f64 v[74:75], v[18:19], v[250:251], -v[16:17]
	v_mul_f64 v[16:17], v[20:21], v[250:251]
	v_add_f64 v[20:21], v[48:49], -v[52:53]
	v_fma_f64 v[76:77], v[18:19], v[248:249], v[16:17]
	v_mul_f64 v[16:17], v[106:107], v[10:11]
	s_delay_alu instid0(VALU_DEP_1) | instskip(SKIP_1) | instid1(VALU_DEP_1)
	v_fma_f64 v[78:79], v[104:105], v[8:9], v[16:17]
	v_mul_f64 v[8:9], v[106:107], v[8:9]
	v_fma_f64 v[80:81], v[104:105], v[10:11], -v[8:9]
	v_mul_f64 v[8:9], v[114:115], v[246:247]
	s_delay_alu instid0(VALU_DEP_1) | instskip(SKIP_1) | instid1(VALU_DEP_1)
	v_fma_f64 v[82:83], v[112:113], v[244:245], v[8:9]
	v_mul_f64 v[8:9], v[114:115], v[244:245]
	v_fma_f64 v[84:85], v[112:113], v[246:247], -v[8:9]
	v_mul_f64 v[8:9], v[102:103], v[0:1]
	s_delay_alu instid0(VALU_DEP_1) | instskip(SKIP_1) | instid1(VALU_DEP_1)
	v_fma_f64 v[86:87], v[100:101], v[2:3], -v[8:9]
	v_mul_f64 v[2:3], v[102:103], v[2:3]
	v_fma_f64 v[88:89], v[100:101], v[0:1], v[2:3]
	v_add_f64 v[0:1], v[12:13], v[28:29]
	v_add_f64 v[2:3], v[6:7], v[14:15]
	s_delay_alu instid0(VALU_DEP_2) | instskip(SKIP_1) | instid1(VALU_DEP_1)
	v_fma_f64 v[16:17], v[0:1], -0.5, v[4:5]
	v_add_f64 v[0:1], v[14:15], v[30:31]
	v_fma_f64 v[18:19], v[0:1], -0.5, v[6:7]
	v_add_f64 v[0:1], v[4:5], v[12:13]
	v_add_f64 v[6:7], v[2:3], v[30:31]
	v_add_f64 v[30:31], v[14:15], -v[30:31]
	s_delay_alu instid0(VALU_DEP_3) | instskip(SKIP_2) | instid1(VALU_DEP_2)
	v_add_f64 v[4:5], v[0:1], v[28:29]
	v_add_f64 v[0:1], v[24:25], v[48:49]
	v_add_f64 v[28:29], v[12:13], -v[28:29]
	v_add_f64 v[8:9], v[0:1], v[52:53]
	v_add_f64 v[0:1], v[32:33], v[58:59]
	s_delay_alu instid0(VALU_DEP_1) | instskip(NEXT) | instid1(VALU_DEP_3)
	v_add_f64 v[10:11], v[0:1], v[50:51]
	v_add_f64 v[0:1], v[4:5], v[8:9]
	v_add_f64 v[4:5], v[4:5], -v[8:9]
	v_add_f64 v[8:9], v[48:49], v[52:53]
	s_delay_alu instid0(VALU_DEP_4) | instskip(SKIP_2) | instid1(VALU_DEP_4)
	v_add_f64 v[2:3], v[6:7], v[10:11]
	v_add_f64 v[6:7], v[6:7], -v[10:11]
	v_add_f64 v[10:11], v[58:59], v[50:51]
	v_fma_f64 v[24:25], v[8:9], -0.5, v[24:25]
	s_delay_alu instid0(VALU_DEP_2) | instskip(SKIP_3) | instid1(VALU_DEP_4)
	v_fma_f64 v[22:23], v[10:11], -0.5, v[32:33]
	v_add_f64 v[32:33], v[58:59], -v[50:51]
	v_fma_f64 v[50:51], v[28:29], s[2:3], v[18:19]
	v_fma_f64 v[28:29], v[28:29], s[10:11], v[18:19]
	;; [unrolled: 1-line block ×3, first 2 shown]
	s_delay_alu instid0(VALU_DEP_4)
	v_fma_f64 v[12:13], v[32:33], s[10:11], v[24:25]
	v_fma_f64 v[20:21], v[20:21], s[10:11], v[22:23]
	v_fma_f64 v[22:23], v[32:33], s[2:3], v[24:25]
	v_fma_f64 v[24:25], v[30:31], s[2:3], v[16:17]
	v_add_f64 v[32:33], v[34:35], -v[72:73]
	v_mul_f64 v[10:11], v[8:9], s[10:11]
	v_mul_f64 v[8:9], v[8:9], 0.5
	v_mul_f64 v[18:19], v[20:21], -0.5
	s_delay_alu instid0(VALU_DEP_3) | instskip(NEXT) | instid1(VALU_DEP_3)
	v_fma_f64 v[14:15], v[12:13], 0.5, v[10:11]
	v_fma_f64 v[48:49], v[12:13], s[2:3], v[8:9]
	v_fma_f64 v[12:13], v[30:31], s[10:11], v[16:17]
	v_mul_f64 v[16:17], v[20:21], s[10:11]
	v_add_f64 v[30:31], v[54:55], -v[42:43]
	s_delay_alu instid0(VALU_DEP_4) | instskip(NEXT) | instid1(VALU_DEP_4)
	v_add_f64 v[10:11], v[50:51], v[48:49]
	v_add_f64 v[8:9], v[12:13], v[14:15]
	s_delay_alu instid0(VALU_DEP_4) | instskip(SKIP_3) | instid1(VALU_DEP_4)
	v_fma_f64 v[20:21], v[22:23], -0.5, v[16:17]
	v_fma_f64 v[22:23], v[22:23], s[2:3], v[18:19]
	v_add_f64 v[12:13], v[12:13], -v[14:15]
	v_add_f64 v[14:15], v[50:51], -v[48:49]
	v_add_f64 v[16:17], v[24:25], v[20:21]
	v_add_f64 v[20:21], v[24:25], -v[20:21]
	scratch_load_b32 v24, off, off offset:376 ; 4-byte Folded Reload
	v_add_f64 v[18:19], v[28:29], v[22:23]
	v_add_f64 v[22:23], v[28:29], -v[22:23]
	s_waitcnt vmcnt(0)
	ds_store_b128 v24, v[0:3]
	ds_store_b128 v24, v[4:7] offset:144
	ds_store_b128 v24, v[8:11] offset:48
	;; [unrolled: 1-line block ×5, first 2 shown]
	v_add_f64 v[0:1], v[26:27], v[38:39]
	v_add_f64 v[2:3], v[242:243], v[34:35]
	;; [unrolled: 1-line block ×4, first 2 shown]
	v_add_f64 v[20:21], v[40:41], -v[44:45]
	v_fma_f64 v[16:17], v[0:1], -0.5, v[240:241]
	v_add_f64 v[0:1], v[34:35], v[72:73]
	v_add_f64 v[6:7], v[2:3], v[72:73]
	;; [unrolled: 1-line block ×4, first 2 shown]
	s_delay_alu instid0(VALU_DEP_4) | instskip(SKIP_2) | instid1(VALU_DEP_2)
	v_fma_f64 v[18:19], v[0:1], -0.5, v[242:243]
	v_add_f64 v[0:1], v[240:241], v[26:27]
	v_add_f64 v[26:27], v[26:27], -v[38:39]
	v_add_f64 v[4:5], v[0:1], v[38:39]
	v_add_f64 v[0:1], v[76:77], v[40:41]
	s_delay_alu instid0(VALU_DEP_1) | instskip(SKIP_1) | instid1(VALU_DEP_1)
	v_add_f64 v[8:9], v[0:1], v[44:45]
	v_add_f64 v[0:1], v[74:75], v[54:55]
	;; [unrolled: 1-line block ×3, first 2 shown]
	s_delay_alu instid0(VALU_DEP_3) | instskip(SKIP_2) | instid1(VALU_DEP_4)
	v_add_f64 v[0:1], v[4:5], v[8:9]
	v_add_f64 v[4:5], v[4:5], -v[8:9]
	v_add_f64 v[8:9], v[82:83], v[78:79]
	v_add_f64 v[2:3], v[6:7], v[10:11]
	v_add_f64 v[6:7], v[6:7], -v[10:11]
	v_add_f64 v[10:11], v[80:81], v[254:255]
	s_delay_alu instid0(VALU_DEP_4) | instskip(SKIP_1) | instid1(VALU_DEP_3)
	v_fma_f64 v[24:25], v[8:9], -0.5, v[252:253]
	v_add_f64 v[8:9], v[84:85], v[80:81]
	v_add_f64 v[10:11], v[84:85], v[10:11]
	s_delay_alu instid0(VALU_DEP_2) | instskip(SKIP_1) | instid1(VALU_DEP_3)
	v_fma_f64 v[28:29], v[8:9], -0.5, v[254:255]
	v_add_f64 v[8:9], v[78:79], v[252:253]
	v_add_f64 v[62:63], v[10:11], v[14:15]
	v_add_f64 v[66:67], v[10:11], -v[14:15]
	v_add_f64 v[10:11], v[54:55], v[42:43]
	s_delay_alu instid0(VALU_DEP_4) | instskip(NEXT) | instid1(VALU_DEP_2)
	v_add_f64 v[8:9], v[82:83], v[8:9]
	v_fma_f64 v[22:23], v[10:11], -0.5, v[74:75]
	s_delay_alu instid0(VALU_DEP_2) | instskip(SKIP_4) | instid1(VALU_DEP_3)
	v_add_f64 v[60:61], v[8:9], v[12:13]
	v_add_f64 v[64:65], v[8:9], -v[12:13]
	v_add_f64 v[8:9], v[40:41], v[44:45]
	v_fma_f64 v[40:41], v[26:27], s[2:3], v[18:19]
	v_fma_f64 v[26:27], v[26:27], s[10:11], v[18:19]
	v_fma_f64 v[34:35], v[8:9], -0.5, v[76:77]
	v_fma_f64 v[8:9], v[20:21], s[2:3], v[22:23]
	v_fma_f64 v[20:21], v[20:21], s[10:11], v[22:23]
	s_delay_alu instid0(VALU_DEP_3) | instskip(NEXT) | instid1(VALU_DEP_3)
	v_fma_f64 v[12:13], v[30:31], s[10:11], v[34:35]
	v_mul_f64 v[10:11], v[8:9], s[10:11]
	v_mul_f64 v[8:9], v[8:9], 0.5
	v_fma_f64 v[22:23], v[30:31], s[2:3], v[34:35]
	v_fma_f64 v[30:31], v[32:33], s[2:3], v[16:17]
	v_mul_f64 v[18:19], v[20:21], -0.5
	v_add_f64 v[34:35], v[46:47], -v[70:71]
	v_fma_f64 v[14:15], v[12:13], 0.5, v[10:11]
	v_fma_f64 v[38:39], v[12:13], s[2:3], v[8:9]
	v_fma_f64 v[12:13], v[32:33], s[10:11], v[16:17]
	v_mul_f64 v[16:17], v[20:21], s[10:11]
	v_add_f64 v[32:33], v[46:47], v[70:71]
	s_delay_alu instid0(VALU_DEP_4) | instskip(NEXT) | instid1(VALU_DEP_4)
	v_add_f64 v[10:11], v[40:41], v[38:39]
	v_add_f64 v[8:9], v[12:13], v[14:15]
	s_delay_alu instid0(VALU_DEP_4)
	v_fma_f64 v[20:21], v[22:23], -0.5, v[16:17]
	v_fma_f64 v[22:23], v[22:23], s[2:3], v[18:19]
	v_fma_f64 v[32:33], v[32:33], -0.5, v[86:87]
	v_add_f64 v[12:13], v[12:13], -v[14:15]
	v_add_f64 v[14:15], v[40:41], -v[38:39]
	;; [unrolled: 1-line block ×3, first 2 shown]
	v_add_f64 v[16:17], v[30:31], v[20:21]
	v_add_f64 v[18:19], v[26:27], v[22:23]
	v_add_f64 v[20:21], v[30:31], -v[20:21]
	v_add_f64 v[22:23], v[26:27], -v[22:23]
	v_add_f64 v[26:27], v[68:69], v[36:37]
	v_add_f64 v[30:31], v[68:69], -v[36:37]
	v_add_f64 v[36:37], v[80:81], -v[84:85]
	v_fma_f64 v[46:47], v[38:39], s[2:3], v[28:29]
	v_fma_f64 v[28:29], v[38:39], s[10:11], v[28:29]
	v_fma_f64 v[26:27], v[26:27], -0.5, v[88:89]
	v_fma_f64 v[40:41], v[30:31], s[2:3], v[32:33]
	v_fma_f64 v[30:31], v[30:31], s[10:11], v[32:33]
	s_delay_alu instid0(VALU_DEP_3) | instskip(NEXT) | instid1(VALU_DEP_3)
	v_fma_f64 v[44:45], v[34:35], s[10:11], v[26:27]
	v_mul_f64 v[42:43], v[40:41], s[10:11]
	v_mul_f64 v[40:41], v[40:41], 0.5
	v_fma_f64 v[26:27], v[34:35], s[2:3], v[26:27]
	v_mul_f64 v[32:33], v[30:31], s[10:11]
	v_mul_f64 v[30:31], v[30:31], -0.5
	v_fma_f64 v[42:43], v[44:45], 0.5, v[42:43]
	v_fma_f64 v[40:41], v[44:45], s[2:3], v[40:41]
	v_fma_f64 v[44:45], v[36:37], s[10:11], v[24:25]
	v_fma_f64 v[24:25], v[36:37], s[2:3], v[24:25]
	v_fma_f64 v[32:33], v[26:27], -0.5, v[32:33]
	v_fma_f64 v[26:27], v[26:27], s[2:3], v[30:31]
	v_add_f64 v[70:71], v[46:47], v[40:41]
	v_add_f64 v[68:69], v[44:45], v[42:43]
	v_add_f64 v[76:77], v[44:45], -v[42:43]
	v_add_f64 v[72:73], v[24:25], v[32:33]
	v_add_f64 v[80:81], v[24:25], -v[32:33]
	scratch_load_b32 v24, off, off offset:368 ; 4-byte Folded Reload
	v_add_f64 v[78:79], v[46:47], -v[40:41]
	v_add_f64 v[74:75], v[28:29], v[26:27]
	v_add_f64 v[82:83], v[28:29], -v[26:27]
	s_waitcnt vmcnt(0)
	ds_store_b128 v24, v[0:3]
	ds_store_b128 v24, v[8:11] offset:48
	ds_store_b128 v24, v[16:19] offset:96
	;; [unrolled: 1-line block ×5, first 2 shown]
	s_and_saveexec_b32 s1, s0
	s_cbranch_execz .LBB0_25
; %bb.24:
	scratch_load_b32 v0, off, off offset:372 ; 4-byte Folded Reload
	s_waitcnt vmcnt(0)
	v_and_b32_e32 v0, 0xffff, v0
	s_delay_alu instid0(VALU_DEP_1)
	v_lshlrev_b32_e32 v0, 4, v0
	ds_store_b128 v0, v[60:63]
	ds_store_b128 v0, v[68:71] offset:48
	ds_store_b128 v0, v[72:75] offset:96
	;; [unrolled: 1-line block ×5, first 2 shown]
.LBB0_25:
	s_or_b32 exec_lo, exec_lo, s1
	s_waitcnt lgkmcnt(0)
	s_barrier
	buffer_gl0_inv
	ds_load_b128 v[4:7], v56
	ds_load_b128 v[0:3], v56 offset:1728
	ds_load_b128 v[20:23], v56 offset:4608
	;; [unrolled: 1-line block ×11, first 2 shown]
	s_and_saveexec_b32 s1, s0
	s_cbranch_execz .LBB0_27
; %bb.26:
	ds_load_b128 v[60:63], v56 offset:3456
	ds_load_b128 v[68:71], v56 offset:8064
	;; [unrolled: 1-line block ×6, first 2 shown]
.LBB0_27:
	s_or_b32 exec_lo, exec_lo, s1
	s_waitcnt lgkmcnt(5)
	v_mul_f64 v[48:49], v[150:151], v[40:41]
	s_mov_b32 s2, 0xe8584caa
	s_mov_b32 s3, 0xbfebb67a
	;; [unrolled: 1-line block ×4, first 2 shown]
	s_waitcnt lgkmcnt(0)
	s_barrier
	buffer_gl0_inv
	v_fma_f64 v[48:49], v[148:149], v[42:43], -v[48:49]
	v_mul_f64 v[42:43], v[150:151], v[42:43]
	s_delay_alu instid0(VALU_DEP_1) | instskip(SKIP_1) | instid1(VALU_DEP_1)
	v_fma_f64 v[40:41], v[148:149], v[40:41], v[42:43]
	v_mul_f64 v[42:43], v[166:167], v[44:45]
	v_fma_f64 v[42:43], v[164:165], v[46:47], -v[42:43]
	v_mul_f64 v[46:47], v[166:167], v[46:47]
	s_delay_alu instid0(VALU_DEP_1) | instskip(SKIP_1) | instid1(VALU_DEP_1)
	v_fma_f64 v[44:45], v[164:165], v[44:45], v[46:47]
	v_mul_f64 v[46:47], v[158:159], v[32:33]
	;; [unrolled: 5-line block ×4, first 2 shown]
	v_fma_f64 v[38:39], v[152:153], v[24:25], v[38:39]
	v_mul_f64 v[24:25], v[154:155], v[24:25]
	s_delay_alu instid0(VALU_DEP_1) | instskip(SKIP_1) | instid1(VALU_DEP_1)
	v_fma_f64 v[24:25], v[152:153], v[26:27], -v[24:25]
	v_mul_f64 v[26:27], v[194:195], v[30:31]
	v_fma_f64 v[26:27], v[192:193], v[28:29], v[26:27]
	v_mul_f64 v[28:29], v[194:195], v[28:29]
	s_delay_alu instid0(VALU_DEP_1) | instskip(SKIP_1) | instid1(VALU_DEP_1)
	v_fma_f64 v[28:29], v[192:193], v[30:31], -v[28:29]
	v_mul_f64 v[30:31], v[142:143], v[20:21]
	v_fma_f64 v[30:31], v[140:141], v[22:23], -v[30:31]
	v_mul_f64 v[22:23], v[142:143], v[22:23]
	s_delay_alu instid0(VALU_DEP_1) | instskip(SKIP_1) | instid1(VALU_DEP_1)
	v_fma_f64 v[20:21], v[140:141], v[20:21], v[22:23]
	v_mul_f64 v[22:23], v[186:187], v[14:15]
	v_fma_f64 v[50:51], v[184:185], v[12:13], v[22:23]
	v_mul_f64 v[12:13], v[186:187], v[12:13]
	s_delay_alu instid0(VALU_DEP_1) | instskip(SKIP_1) | instid1(VALU_DEP_1)
	v_fma_f64 v[52:53], v[184:185], v[14:15], -v[12:13]
	v_mul_f64 v[12:13], v[190:191], v[18:19]
	v_fma_f64 v[54:55], v[188:189], v[16:17], v[12:13]
	v_mul_f64 v[12:13], v[190:191], v[16:17]
	s_delay_alu instid0(VALU_DEP_1) | instskip(SKIP_1) | instid1(VALU_DEP_1)
	v_fma_f64 v[58:59], v[188:189], v[18:19], -v[12:13]
	v_mul_f64 v[12:13], v[146:147], v[8:9]
	v_fma_f64 v[84:85], v[144:145], v[10:11], -v[12:13]
	v_mul_f64 v[10:11], v[146:147], v[10:11]
	s_delay_alu instid0(VALU_DEP_1) | instskip(SKIP_1) | instid1(VALU_DEP_1)
	v_fma_f64 v[86:87], v[144:145], v[8:9], v[10:11]
	v_add_f64 v[8:9], v[38:39], v[26:27]
	v_fma_f64 v[88:89], v[8:9], -0.5, v[4:5]
	v_add_f64 v[8:9], v[24:25], v[28:29]
	v_add_f64 v[4:5], v[4:5], v[38:39]
	s_delay_alu instid0(VALU_DEP_2) | instskip(NEXT) | instid1(VALU_DEP_2)
	v_fma_f64 v[90:91], v[8:9], -0.5, v[6:7]
	v_add_f64 v[8:9], v[4:5], v[26:27]
	v_add_f64 v[4:5], v[20:21], v[40:41]
	;; [unrolled: 1-line block ×3, first 2 shown]
	v_add_f64 v[24:25], v[24:25], -v[28:29]
	v_add_f64 v[26:27], v[38:39], -v[26:27]
	s_delay_alu instid0(VALU_DEP_4) | instskip(SKIP_2) | instid1(VALU_DEP_2)
	v_add_f64 v[12:13], v[4:5], v[44:45]
	v_add_f64 v[4:5], v[30:31], v[48:49]
	v_add_f64 v[10:11], v[6:7], v[28:29]
	v_add_f64 v[14:15], v[4:5], v[42:43]
	s_delay_alu instid0(VALU_DEP_4) | instskip(SKIP_2) | instid1(VALU_DEP_4)
	v_add_f64 v[4:5], v[8:9], v[12:13]
	v_add_f64 v[8:9], v[8:9], -v[12:13]
	v_add_f64 v[12:13], v[50:51], v[54:55]
	v_add_f64 v[6:7], v[10:11], v[14:15]
	v_add_f64 v[10:11], v[10:11], -v[14:15]
	s_delay_alu instid0(VALU_DEP_3) | instskip(SKIP_2) | instid1(VALU_DEP_2)
	v_fma_f64 v[92:93], v[12:13], -0.5, v[0:1]
	v_add_f64 v[12:13], v[52:53], v[58:59]
	v_add_f64 v[0:1], v[0:1], v[50:51]
	v_fma_f64 v[94:95], v[12:13], -0.5, v[2:3]
	s_delay_alu instid0(VALU_DEP_2) | instskip(SKIP_2) | instid1(VALU_DEP_2)
	v_add_f64 v[12:13], v[0:1], v[54:55]
	v_add_f64 v[0:1], v[86:87], v[32:33]
	v_add_f64 v[2:3], v[2:3], v[52:53]
	v_add_f64 v[16:17], v[0:1], v[36:37]
	v_add_f64 v[0:1], v[84:85], v[46:47]
	s_delay_alu instid0(VALU_DEP_3) | instskip(NEXT) | instid1(VALU_DEP_2)
	v_add_f64 v[14:15], v[2:3], v[58:59]
	v_add_f64 v[18:19], v[0:1], v[34:35]
	s_delay_alu instid0(VALU_DEP_4)
	v_add_f64 v[0:1], v[12:13], v[16:17]
	v_add_f64 v[12:13], v[12:13], -v[16:17]
	v_add_f64 v[16:17], v[40:41], v[44:45]
	v_add_f64 v[40:41], v[40:41], -v[44:45]
	v_fma_f64 v[44:45], v[26:27], s[10:11], v[90:91]
	v_add_f64 v[2:3], v[14:15], v[18:19]
	v_add_f64 v[14:15], v[14:15], -v[18:19]
	v_add_f64 v[18:19], v[48:49], v[42:43]
	v_add_f64 v[42:43], v[48:49], -v[42:43]
	v_fma_f64 v[28:29], v[16:17], -0.5, v[20:21]
	v_add_f64 v[48:49], v[50:51], -v[54:55]
	s_delay_alu instid0(VALU_DEP_4) | instskip(NEXT) | instid1(VALU_DEP_3)
	v_fma_f64 v[30:31], v[18:19], -0.5, v[30:31]
	v_fma_f64 v[20:21], v[42:43], s[2:3], v[28:29]
	v_fma_f64 v[28:29], v[42:43], s[10:11], v[28:29]
	s_delay_alu instid0(VALU_DEP_4) | instskip(NEXT) | instid1(VALU_DEP_4)
	v_fma_f64 v[54:55], v[48:49], s[10:11], v[94:95]
	v_fma_f64 v[16:17], v[40:41], s[10:11], v[30:31]
	;; [unrolled: 1-line block ×4, first 2 shown]
	s_delay_alu instid0(VALU_DEP_3) | instskip(SKIP_1) | instid1(VALU_DEP_4)
	v_mul_f64 v[18:19], v[16:17], s[2:3]
	v_mul_f64 v[16:17], v[16:17], 0.5
	v_mul_f64 v[26:27], v[30:31], -0.5
	s_delay_alu instid0(VALU_DEP_3) | instskip(NEXT) | instid1(VALU_DEP_3)
	v_fma_f64 v[22:23], v[20:21], 0.5, v[18:19]
	v_fma_f64 v[38:39], v[20:21], s[10:11], v[16:17]
	v_fma_f64 v[20:21], v[24:25], s[2:3], v[88:89]
	s_delay_alu instid0(VALU_DEP_4) | instskip(NEXT) | instid1(VALU_DEP_3)
	v_fma_f64 v[42:43], v[28:29], s[10:11], v[26:27]
	v_add_f64 v[18:19], v[44:45], v[38:39]
	s_delay_alu instid0(VALU_DEP_3)
	v_add_f64 v[16:17], v[20:21], v[22:23]
	v_add_f64 v[20:21], v[20:21], -v[22:23]
	v_add_f64 v[22:23], v[44:45], -v[38:39]
	v_fma_f64 v[38:39], v[24:25], s[10:11], v[88:89]
	v_mul_f64 v[24:25], v[30:31], s[2:3]
	v_add_f64 v[26:27], v[40:41], v[42:43]
	v_add_f64 v[44:45], v[46:47], -v[34:35]
	s_delay_alu instid0(VALU_DEP_3) | instskip(NEXT) | instid1(VALU_DEP_1)
	v_fma_f64 v[30:31], v[28:29], -0.5, v[24:25]
	v_add_f64 v[24:25], v[38:39], v[30:31]
	v_add_f64 v[28:29], v[38:39], -v[30:31]
	v_add_f64 v[30:31], v[40:41], -v[42:43]
	ds_store_b128 v57, v[4:7]
	ds_store_b128 v57, v[8:11] offset:864
	ds_store_b128 v57, v[16:19] offset:288
	ds_store_b128 v57, v[24:27] offset:576
	ds_store_b128 v57, v[20:23] offset:1152
	ds_store_b128 v57, v[28:31] offset:1440
	scratch_load_b32 v4, off, off offset:384 ; 4-byte Folded Reload
	v_add_f64 v[38:39], v[32:33], v[36:37]
	v_add_f64 v[40:41], v[32:33], -v[36:37]
	v_add_f64 v[32:33], v[46:47], v[34:35]
	v_add_f64 v[46:47], v[52:53], -v[58:59]
	s_delay_alu instid0(VALU_DEP_4) | instskip(NEXT) | instid1(VALU_DEP_3)
	v_fma_f64 v[50:51], v[38:39], -0.5, v[86:87]
	v_fma_f64 v[42:43], v[32:33], -0.5, v[84:85]
	s_delay_alu instid0(VALU_DEP_2) | instskip(NEXT) | instid1(VALU_DEP_2)
	v_fma_f64 v[36:37], v[44:45], s[2:3], v[50:51]
	v_fma_f64 v[32:33], v[40:41], s[10:11], v[42:43]
	;; [unrolled: 1-line block ×5, first 2 shown]
	s_delay_alu instid0(VALU_DEP_4) | instskip(SKIP_1) | instid1(VALU_DEP_2)
	v_mul_f64 v[34:35], v[32:33], s[2:3]
	v_mul_f64 v[32:33], v[32:33], 0.5
	v_fma_f64 v[38:39], v[36:37], 0.5, v[34:35]
	s_delay_alu instid0(VALU_DEP_2)
	v_fma_f64 v[52:53], v[36:37], s[10:11], v[32:33]
	v_fma_f64 v[36:37], v[46:47], s[2:3], v[92:93]
	;; [unrolled: 1-line block ×3, first 2 shown]
	v_mul_f64 v[48:49], v[40:41], s[2:3]
	v_mul_f64 v[40:41], v[40:41], -0.5
	v_add_f64 v[34:35], v[54:55], v[52:53]
	v_add_f64 v[32:33], v[36:37], v[38:39]
	v_add_f64 v[36:37], v[36:37], -v[38:39]
	v_fma_f64 v[48:49], v[42:43], -0.5, v[48:49]
	v_fma_f64 v[50:51], v[42:43], s[10:11], v[40:41]
	v_add_f64 v[38:39], v[54:55], -v[52:53]
	s_delay_alu instid0(VALU_DEP_3) | instskip(NEXT) | instid1(VALU_DEP_3)
	v_add_f64 v[40:41], v[44:45], v[48:49]
	v_add_f64 v[42:43], v[46:47], v[50:51]
	v_add_f64 v[44:45], v[44:45], -v[48:49]
	v_add_f64 v[46:47], v[46:47], -v[50:51]
	s_waitcnt vmcnt(0)
	ds_store_b128 v4, v[0:3]
	ds_store_b128 v4, v[32:35] offset:288
	ds_store_b128 v4, v[40:43] offset:576
	ds_store_b128 v4, v[12:15] offset:864
	ds_store_b128 v4, v[36:39] offset:1152
	ds_store_b128 v4, v[44:47] offset:1440
	s_and_saveexec_b32 s1, s0
	s_cbranch_execz .LBB0_29
; %bb.28:
	s_clause 0x2
	scratch_load_b128 v[20:23], off, off offset:388
	scratch_load_b128 v[26:29], off, off offset:420
	;; [unrolled: 1-line block ×3, first 2 shown]
	s_waitcnt vmcnt(2)
	v_mul_f64 v[0:1], v[22:23], v[64:65]
	v_mul_f64 v[4:5], v[22:23], v[66:67]
	scratch_load_b128 v[22:25], off, off offset:404 ; 16-byte Folded Reload
	s_waitcnt vmcnt(2)
	v_mul_f64 v[2:3], v[28:29], v[80:81]
	v_mul_f64 v[6:7], v[28:29], v[82:83]
	scratch_load_b128 v[28:31], off, off offset:436 ; 16-byte Folded Reload
	s_waitcnt vmcnt(2)
	v_mul_f64 v[12:13], v[34:35], v[76:77]
	v_mul_f64 v[16:17], v[34:35], v[78:79]
	v_fma_f64 v[0:1], v[20:21], v[66:67], -v[0:1]
	v_fma_f64 v[4:5], v[20:21], v[64:65], v[4:5]
	v_fma_f64 v[2:3], v[26:27], v[82:83], -v[2:3]
	v_fma_f64 v[6:7], v[26:27], v[80:81], v[6:7]
	;; [unrolled: 2-line block ×3, first 2 shown]
	s_delay_alu instid0(VALU_DEP_4)
	v_add_f64 v[20:21], v[0:1], v[2:3]
	s_waitcnt vmcnt(1)
	v_mul_f64 v[8:9], v[24:25], v[68:69]
	v_mul_f64 v[18:19], v[24:25], v[70:71]
	v_add_f64 v[24:25], v[4:5], -v[6:7]
	s_waitcnt vmcnt(0)
	v_mul_f64 v[10:11], v[30:31], v[72:73]
	v_mul_f64 v[14:15], v[30:31], v[74:75]
	v_fma_f64 v[8:9], v[22:23], v[70:71], -v[8:9]
	v_fma_f64 v[18:19], v[22:23], v[68:69], v[18:19]
	v_add_f64 v[22:23], v[4:5], v[6:7]
	v_fma_f64 v[10:11], v[28:29], v[74:75], -v[10:11]
	v_fma_f64 v[14:15], v[28:29], v[72:73], v[14:15]
	v_add_f64 v[28:29], v[0:1], -v[2:3]
	v_fma_f64 v[20:21], v[20:21], -0.5, v[8:9]
	v_add_f64 v[0:1], v[0:1], v[8:9]
	v_fma_f64 v[22:23], v[22:23], -0.5, v[18:19]
	v_add_f64 v[26:27], v[12:13], v[10:11]
	v_add_f64 v[30:31], v[16:17], v[14:15]
	;; [unrolled: 1-line block ×3, first 2 shown]
	v_add_f64 v[8:9], v[10:11], -v[12:13]
	v_add_f64 v[10:11], v[14:15], v[60:61]
	v_add_f64 v[4:5], v[4:5], v[18:19]
	v_fma_f64 v[32:33], v[24:25], s[2:3], v[20:21]
	v_fma_f64 v[20:21], v[24:25], s[10:11], v[20:21]
	v_add_f64 v[24:25], v[14:15], -v[16:17]
	v_fma_f64 v[14:15], v[26:27], -0.5, v[62:63]
	v_fma_f64 v[26:27], v[28:29], s[10:11], v[22:23]
	v_fma_f64 v[22:23], v[28:29], s[2:3], v[22:23]
	v_fma_f64 v[18:19], v[30:31], -0.5, v[60:61]
	v_add_f64 v[10:11], v[16:17], v[10:11]
	v_add_f64 v[12:13], v[12:13], v[34:35]
	;; [unrolled: 1-line block ×4, first 2 shown]
	v_mul_f64 v[30:31], v[32:33], -0.5
	v_mul_f64 v[28:29], v[20:21], 0.5
	v_mul_f64 v[20:21], v[20:21], s[2:3]
	v_fma_f64 v[16:17], v[24:25], s[2:3], v[14:15]
	v_fma_f64 v[24:25], v[24:25], s[10:11], v[14:15]
	v_mul_f64 v[32:33], v[32:33], s[2:3]
	v_fma_f64 v[36:37], v[8:9], s[10:11], v[18:19]
	v_fma_f64 v[8:9], v[8:9], s[2:3], v[18:19]
	v_add_f64 v[6:7], v[12:13], v[34:35]
	v_add_f64 v[0:1], v[10:11], -v[4:5]
	v_add_f64 v[4:5], v[10:11], v[4:5]
	v_add_f64 v[2:3], v[12:13], -v[34:35]
	v_fma_f64 v[14:15], v[26:27], s[10:11], v[30:31]
	v_fma_f64 v[28:29], v[22:23], s[10:11], v[28:29]
	v_fma_f64 v[20:21], v[22:23], 0.5, v[20:21]
	v_fma_f64 v[26:27], v[26:27], -0.5, v[32:33]
	s_delay_alu instid0(VALU_DEP_4) | instskip(NEXT) | instid1(VALU_DEP_4)
	v_add_f64 v[10:11], v[16:17], -v[14:15]
	v_add_f64 v[18:19], v[24:25], v[28:29]
	v_add_f64 v[22:23], v[24:25], -v[28:29]
	scratch_load_b32 v24, off, off offset:380 ; 4-byte Folded Reload
	v_add_f64 v[14:15], v[16:17], v[14:15]
	v_add_f64 v[16:17], v[8:9], v[20:21]
	;; [unrolled: 1-line block ×3, first 2 shown]
	v_add_f64 v[20:21], v[8:9], -v[20:21]
	v_add_f64 v[8:9], v[36:37], -v[26:27]
	s_waitcnt vmcnt(0)
	v_and_b32_e32 v24, 0xffff, v24
	s_delay_alu instid0(VALU_DEP_1)
	v_lshlrev_b32_e32 v24, 4, v24
	ds_store_b128 v24, v[4:7]
	ds_store_b128 v24, v[16:19] offset:288
	ds_store_b128 v24, v[12:15] offset:576
	;; [unrolled: 1-line block ×5, first 2 shown]
.LBB0_29:
	s_or_b32 exec_lo, exec_lo, s1
	s_waitcnt lgkmcnt(0)
	s_barrier
	buffer_gl0_inv
	ds_load_b128 v[0:3], v56 offset:1728
	ds_load_b128 v[4:7], v56 offset:3456
	;; [unrolled: 1-line block ×15, first 2 shown]
	s_mov_b32 s0, 0x667f3bcd
	s_mov_b32 s1, 0xbfe6a09e
	;; [unrolled: 1-line block ×5, first 2 shown]
	s_waitcnt lgkmcnt(14)
	v_mul_f64 v[63:64], v[182:183], v[0:1]
	s_waitcnt lgkmcnt(13)
	v_mul_f64 v[65:66], v[178:179], v[6:7]
	;; [unrolled: 2-line block ×15, first 2 shown]
	v_mul_f64 v[61:62], v[182:183], v[2:3]
	v_mul_f64 v[67:68], v[178:179], v[4:5]
	;; [unrolled: 1-line block ×15, first 2 shown]
	s_mov_b32 s11, 0xbfed906b
	s_mov_b32 s17, 0x3fed906b
	;; [unrolled: 1-line block ×7, first 2 shown]
	v_fma_f64 v[63:64], v[180:181], v[2:3], -v[63:64]
	v_fma_f64 v[4:5], v[176:177], v[4:5], v[65:66]
	v_fma_f64 v[10:11], v[172:173], v[10:11], -v[71:72]
	v_fma_f64 v[12:13], v[168:169], v[12:13], v[73:74]
	v_fma_f64 v[16:17], v[196:197], v[16:17], v[77:78]
	;; [unrolled: 1-line block ×5, first 2 shown]
	v_fma_f64 v[34:35], v[212:213], v[34:35], -v[107:108]
	v_fma_f64 v[36:37], v[220:221], v[36:37], v[97:98]
	v_fma_f64 v[42:43], v[216:217], v[42:43], -v[115:116]
	v_fma_f64 v[44:45], v[224:225], v[44:45], v[93:94]
	v_fma_f64 v[48:49], v[228:229], v[48:49], v[109:110]
	;; [unrolled: 1-line block ×5, first 2 shown]
	v_fma_f64 v[6:7], v[176:177], v[6:7], -v[67:68]
	v_fma_f64 v[8:9], v[172:173], v[8:9], v[69:70]
	v_fma_f64 v[14:15], v[168:169], v[14:15], -v[75:76]
	v_fma_f64 v[18:19], v[196:197], v[18:19], -v[79:80]
	;; [unrolled: 1-line block ×8, first 2 shown]
	v_fma_f64 v[32:33], v[212:213], v[32:33], v[105:106]
	v_fma_f64 v[50:51], v[228:229], v[50:51], -v[111:112]
	v_fma_f64 v[40:41], v[216:217], v[40:41], v[113:114]
	v_fma_f64 v[59:60], v[236:237], v[59:60], -v[117:118]
	ds_load_b128 v[0:3], v56
	v_add_f64 v[34:35], v[63:64], -v[34:35]
	v_add_f64 v[36:37], v[4:5], -v[36:37]
	;; [unrolled: 1-line block ×4, first 2 shown]
	s_waitcnt lgkmcnt(0)
	v_add_f64 v[28:29], v[0:1], -v[28:29]
	v_add_f64 v[52:53], v[20:21], -v[52:53]
	v_add_f64 v[48:49], v[16:17], -v[48:49]
	v_add_f64 v[57:58], v[24:25], -v[57:58]
	v_add_f64 v[30:31], v[2:3], -v[30:31]
	v_add_f64 v[46:47], v[14:15], -v[46:47]
	v_add_f64 v[38:39], v[6:7], -v[38:39]
	v_add_f64 v[54:55], v[22:23], -v[54:55]
	v_add_f64 v[32:33], v[61:62], -v[32:33]
	v_add_f64 v[50:51], v[18:19], -v[50:51]
	v_add_f64 v[40:41], v[8:9], -v[40:41]
	v_add_f64 v[59:60], v[26:27], -v[59:60]
	v_fma_f64 v[4:5], v[4:5], 2.0, -v[36:37]
	v_fma_f64 v[10:11], v[10:11], 2.0, -v[42:43]
	;; [unrolled: 1-line block ×5, first 2 shown]
	v_add_f64 v[75:76], v[34:35], -v[48:49]
	v_add_f64 v[79:80], v[42:43], -v[57:58]
	v_fma_f64 v[16:17], v[16:17], 2.0, -v[48:49]
	v_fma_f64 v[24:25], v[24:25], 2.0, -v[57:58]
	;; [unrolled: 1-line block ×6, first 2 shown]
	v_add_f64 v[65:66], v[28:29], v[46:47]
	v_add_f64 v[73:74], v[32:33], v[50:51]
	v_add_f64 v[67:68], v[30:31], -v[44:45]
	v_add_f64 v[77:78], v[40:41], v[59:60]
	v_fma_f64 v[44:45], v[61:62], 2.0, -v[32:33]
	v_fma_f64 v[46:47], v[63:64], 2.0, -v[34:35]
	;; [unrolled: 1-line block ×5, first 2 shown]
	v_add_f64 v[71:72], v[38:39], -v[52:53]
	v_add_f64 v[69:70], v[36:37], v[54:55]
	v_add_f64 v[12:13], v[0:1], -v[12:13]
	v_add_f64 v[20:21], v[4:5], -v[20:21]
	v_fma_f64 v[34:35], v[34:35], 2.0, -v[75:76]
	v_fma_f64 v[42:43], v[42:43], 2.0, -v[79:80]
	v_fma_f64 v[54:55], v[79:80], s[2:3], v[75:76]
	v_add_f64 v[14:15], v[2:3], -v[14:15]
	v_add_f64 v[22:23], v[6:7], -v[22:23]
	v_fma_f64 v[28:29], v[28:29], 2.0, -v[65:66]
	v_fma_f64 v[32:33], v[32:33], 2.0, -v[73:74]
	;; [unrolled: 1-line block ×4, first 2 shown]
	v_add_f64 v[16:17], v[44:45], -v[16:17]
	v_fma_f64 v[52:53], v[77:78], s[2:3], v[73:74]
	v_add_f64 v[18:19], v[46:47], -v[18:19]
	v_add_f64 v[24:25], v[8:9], -v[24:25]
	;; [unrolled: 1-line block ×3, first 2 shown]
	v_fma_f64 v[38:39], v[38:39], 2.0, -v[71:72]
	v_fma_f64 v[36:37], v[36:37], 2.0, -v[69:70]
	v_fma_f64 v[48:49], v[69:70], s[2:3], v[65:66]
	v_fma_f64 v[50:51], v[71:72], s[2:3], v[67:68]
	v_fma_f64 v[0:1], v[0:1], 2.0, -v[12:13]
	v_fma_f64 v[4:5], v[4:5], 2.0, -v[20:21]
	v_fma_f64 v[63:64], v[42:43], s[0:1], v[34:35]
	v_fma_f64 v[54:55], v[77:78], s[0:1], v[54:55]
	v_fma_f64 v[2:3], v[2:3], 2.0, -v[14:15]
	v_add_f64 v[83:84], v[14:15], -v[20:21]
	v_fma_f64 v[6:7], v[6:7], 2.0, -v[22:23]
	v_add_f64 v[81:82], v[12:13], v[22:23]
	v_fma_f64 v[61:62], v[40:41], s[0:1], v[32:33]
	v_fma_f64 v[44:45], v[44:45], 2.0, -v[16:17]
	v_fma_f64 v[52:53], v[79:80], s[2:3], v[52:53]
	v_fma_f64 v[46:47], v[46:47], 2.0, -v[18:19]
	v_add_f64 v[22:23], v[18:19], -v[24:25]
	v_add_f64 v[20:21], v[16:17], v[26:27]
	v_fma_f64 v[10:11], v[10:11], 2.0, -v[26:27]
	v_fma_f64 v[8:9], v[8:9], 2.0, -v[24:25]
	v_fma_f64 v[57:58], v[36:37], s[0:1], v[28:29]
	v_fma_f64 v[59:60], v[38:39], s[0:1], v[30:31]
	;; [unrolled: 1-line block ×5, first 2 shown]
	v_add_f64 v[40:41], v[0:1], -v[4:5]
	v_fma_f64 v[63:64], v[14:15], 2.0, -v[83:84]
	v_fma_f64 v[24:25], v[42:43], s[2:3], v[61:62]
	v_add_f64 v[42:43], v[2:3], -v[6:7]
	v_fma_f64 v[61:62], v[12:13], 2.0, -v[81:82]
	v_fma_f64 v[12:13], v[18:19], 2.0, -v[22:23]
	;; [unrolled: 1-line block ×5, first 2 shown]
	v_fma_f64 v[57:58], v[38:39], s[2:3], v[57:58]
	v_fma_f64 v[59:60], v[36:37], s[0:1], v[59:60]
	v_fma_f64 v[65:66], v[65:66], 2.0, -v[48:49]
	v_fma_f64 v[67:68], v[67:68], 2.0, -v[50:51]
	v_add_f64 v[36:37], v[44:45], -v[8:9]
	v_add_f64 v[8:9], v[46:47], -v[10:11]
	v_fma_f64 v[4:5], v[20:21], s[2:3], v[81:82]
	v_fma_f64 v[6:7], v[22:23], s[2:3], v[83:84]
	;; [unrolled: 1-line block ×3, first 2 shown]
	v_fma_f64 v[73:74], v[0:1], 2.0, -v[40:41]
	scratch_load_b64 v[0:1], off, off offset:156 ; 8-byte Folded Reload
	v_fma_f64 v[75:76], v[2:3], 2.0, -v[42:43]
	s_clause 0x1
	scratch_load_b32 v3, off, off offset:164
	scratch_load_b32 v141, off, off
	v_fma_f64 v[38:39], v[12:13], s[0:1], v[63:64]
	v_fma_f64 v[69:70], v[28:29], 2.0, -v[57:58]
	v_fma_f64 v[71:72], v[30:31], 2.0, -v[59:60]
	v_fma_f64 v[30:31], v[32:33], 2.0, -v[24:25]
	v_fma_f64 v[28:29], v[34:35], 2.0, -v[26:27]
	v_fma_f64 v[32:33], v[54:55], s[16:17], v[50:51]
	v_fma_f64 v[34:35], v[14:15], s[0:1], v[61:62]
	v_fma_f64 v[77:78], v[18:19], s[14:15], v[65:66]
	v_fma_f64 v[79:80], v[16:17], s[14:15], v[67:68]
	v_fma_f64 v[85:86], v[24:25], s[12:13], v[57:58]
	v_fma_f64 v[87:88], v[26:27], s[12:13], v[59:60]
	v_fma_f64 v[44:45], v[44:45], 2.0, -v[36:37]
	v_fma_f64 v[46:47], v[46:47], 2.0, -v[8:9]
	v_add_f64 v[8:9], v[40:41], v[8:9]
	v_fma_f64 v[14:15], v[14:15], s[0:1], v[38:39]
	v_fma_f64 v[89:90], v[30:31], s[10:11], v[69:70]
	v_fma_f64 v[91:92], v[28:29], s[10:11], v[71:72]
	v_fma_f64 v[12:13], v[12:13], s[2:3], v[34:35]
	v_fma_f64 v[16:17], v[16:17], s[16:17], v[77:78]
	v_fma_f64 v[18:19], v[18:19], s[10:11], v[79:80]
	v_fma_f64 v[40:41], v[40:41], 2.0, -v[8:9]
	v_fma_f64 v[28:29], v[28:29], s[12:13], v[89:90]
	v_fma_f64 v[30:31], v[30:31], s[14:15], v[91:92]
	s_waitcnt vmcnt(2)
	v_mov_b32_e32 v2, v0
	s_delay_alu instid0(VALU_DEP_1) | instskip(SKIP_3) | instid1(VALU_DEP_1)
	v_mad_u64_u32 v[93:94], null, s6, v2, 0
	s_mul_i32 s6, s4, 0x240
	s_waitcnt vmcnt(1)
	v_mad_u64_u32 v[95:96], null, s4, v3, 0
	v_dual_mov_b32 v0, v94 :: v_dual_mov_b32 v1, v96
	s_delay_alu instid0(VALU_DEP_1)
	v_mad_u64_u32 v[96:97], null, s7, v2, v[0:1]
	v_mad_u64_u32 v[97:98], null, s5, v3, v[1:2]
	v_fma_f64 v[0:1], v[22:23], s[2:3], v[4:5]
	v_fma_f64 v[2:3], v[20:21], s[0:1], v[6:7]
	;; [unrolled: 1-line block ×4, first 2 shown]
	v_add_f64 v[10:11], v[42:43], -v[36:37]
	v_fma_f64 v[20:21], v[26:27], s[16:17], v[85:86]
	v_fma_f64 v[22:23], v[24:25], s[10:11], v[87:88]
	v_add_f64 v[24:25], v[73:74], -v[44:45]
	v_add_f64 v[26:27], v[75:76], -v[46:47]
	v_mov_b32_e32 v94, v96
	v_mov_b32_e32 v96, v97
	s_mul_i32 s0, s5, 0x240
	s_mul_hi_u32 s1, s4, 0x240
	v_fma_f64 v[44:45], v[61:62], 2.0, -v[12:13]
	v_lshlrev_b64 v[32:33], 4, v[93:94]
	v_lshlrev_b64 v[34:35], 4, v[95:96]
	s_add_i32 s7, s1, s0
	v_fma_f64 v[46:47], v[63:64], 2.0, -v[14:15]
	v_fma_f64 v[61:62], v[69:70], 2.0, -v[28:29]
	;; [unrolled: 1-line block ×3, first 2 shown]
	v_add_co_u32 v139, s0, s8, v32
	s_delay_alu instid0(VALU_DEP_1) | instskip(SKIP_1) | instid1(VALU_DEP_2)
	v_add_co_ci_u32_e64 v140, s0, s9, v33, s0
	s_lshl_b64 s[6:7], s[6:7], 4
	v_add_co_u32 v77, s0, v139, v34
	s_delay_alu instid0(VALU_DEP_1)
	v_add_co_ci_u32_e64 v78, s0, v140, v35, s0
	s_mul_i32 s1, s5, 0xffffe2c0
	s_mul_hi_u32 s9, s4, 0xfffffbec
	s_mul_i32 s8, s5, 0xfffffbec
	s_sub_i32 s9, s9, s4
	s_mov_b32 s2, 0xbda12f68
	s_mov_b32 s3, 0x3f42f684
	v_fma_f64 v[32:33], v[81:82], 2.0, -v[0:1]
	v_fma_f64 v[34:35], v[83:84], 2.0, -v[2:3]
	v_fma_f64 v[36:37], v[48:49], 2.0, -v[4:5]
	v_fma_f64 v[38:39], v[50:51], 2.0, -v[6:7]
	v_fma_f64 v[48:49], v[65:66], 2.0, -v[16:17]
	v_fma_f64 v[50:51], v[67:68], 2.0, -v[18:19]
	v_fma_f64 v[42:43], v[42:43], 2.0, -v[10:11]
	v_fma_f64 v[52:53], v[57:58], 2.0, -v[20:21]
	v_fma_f64 v[54:55], v[59:60], 2.0, -v[22:23]
	v_fma_f64 v[57:58], v[73:74], 2.0, -v[24:25]
	v_fma_f64 v[59:60], v[75:76], 2.0, -v[26:27]
	v_add_co_u32 v65, s0, v77, s6
	s_delay_alu instid0(VALU_DEP_1)
	v_add_co_ci_u32_e64 v66, s0, s7, v78, s0
	s_waitcnt vmcnt(0)
	v_mad_u64_u32 v[67:68], null, s4, v141, 0
	s_mul_i32 s0, s4, 0xfffffbec
	ds_store_b128 v56, v[0:3] offset:24192
	ds_store_b128 v56, v[4:7] offset:25920
	;; [unrolled: 1-line block ×14, first 2 shown]
	ds_store_b128 v56, v[57:60]
	ds_store_b128 v56, v[61:64] offset:1728
	s_waitcnt lgkmcnt(0)
	s_barrier
	buffer_gl0_inv
	ds_load_b128 v[0:3], v56
	ds_load_b128 v[4:7], v56 offset:9216
	ds_load_b128 v[8:11], v56 offset:18432
	;; [unrolled: 1-line block ×14, first 2 shown]
	s_clause 0x5
	scratch_load_b128 v[164:167], off, off offset:132
	scratch_load_b128 v[160:163], off, off offset:116
	;; [unrolled: 1-line block ×6, first 2 shown]
	v_mad_u64_u32 v[69:70], null, 0xffffe2c0, s4, v[65:66]
	s_sub_i32 s4, s1, s4
	s_add_i32 s1, s9, s8
	s_delay_alu instid0(SALU_CYCLE_1) | instskip(NEXT) | instid1(VALU_DEP_1)
	s_lshl_b64 s[8:9], s[0:1], 4
	v_add_nc_u32_e32 v70, s4, v70
	s_delay_alu instid0(VALU_DEP_2) | instskip(NEXT) | instid1(VALU_DEP_1)
	v_add_co_u32 v71, s0, v69, s6
	v_add_co_ci_u32_e64 v72, s0, s7, v70, s0
	s_delay_alu instid0(VALU_DEP_2) | instskip(NEXT) | instid1(VALU_DEP_1)
	v_add_co_u32 v73, s0, v71, s6
	v_add_co_ci_u32_e64 v74, s0, s7, v72, s0
	;; [unrolled: 3-line block ×5, first 2 shown]
	s_waitcnt vmcnt(5) lgkmcnt(13)
	v_mul_f64 v[79:80], v[166:167], v[6:7]
	v_mul_f64 v[81:82], v[166:167], v[4:5]
	scratch_load_b128 v[166:169], off, off offset:168 ; 16-byte Folded Reload
	s_waitcnt vmcnt(4) lgkmcnt(8)
	v_mul_f64 v[103:104], v[174:175], v[26:27]
	v_mul_f64 v[105:106], v[174:175], v[24:25]
	scratch_load_b128 v[174:177], off, off offset:216 ; 16-byte Folded Reload
	s_waitcnt vmcnt(4)
	v_mul_f64 v[61:62], v[144:145], v[2:3]
	v_mul_f64 v[63:64], v[144:145], v[0:1]
	scratch_load_b128 v[144:147], off, off offset:36 ; 16-byte Folded Reload
	s_waitcnt vmcnt(4)
	v_mul_f64 v[83:84], v[152:153], v[10:11]
	v_mul_f64 v[85:86], v[152:153], v[8:9]
	scratch_load_b128 v[152:155], off, off offset:84 ; 16-byte Folded Reload
	v_mul_f64 v[91:92], v[162:163], v[18:19]
	v_mul_f64 v[93:94], v[162:163], v[16:17]
	v_fma_f64 v[0:1], v[142:143], v[0:1], v[61:62]
	v_fma_f64 v[61:62], v[142:143], v[2:3], -v[63:64]
	v_fma_f64 v[63:64], v[164:165], v[4:5], v[79:80]
	v_fma_f64 v[79:80], v[164:165], v[6:7], -v[81:82]
	;; [unrolled: 2-line block ×3, first 2 shown]
	v_mul_f64 v[2:3], v[0:1], s[2:3]
	v_mul_f64 v[4:5], v[61:62], s[2:3]
	;; [unrolled: 1-line block ×5, first 2 shown]
	s_waitcnt vmcnt(3) lgkmcnt(2)
	v_mul_f64 v[115:116], v[168:169], v[50:51]
	v_mul_f64 v[117:118], v[168:169], v[48:49]
	scratch_load_b128 v[168:171], off, off offset:184 ; 16-byte Folded Reload
	s_waitcnt vmcnt(3)
	v_mul_f64 v[107:108], v[176:177], v[38:39]
	v_mul_f64 v[109:110], v[176:177], v[36:37]
	scratch_load_b128 v[176:179], off, off offset:232 ; 16-byte Folded Reload
	s_waitcnt vmcnt(3)
	v_mul_f64 v[87:88], v[146:147], v[14:15]
	v_mul_f64 v[89:90], v[146:147], v[12:13]
	scratch_load_b128 v[146:149], off, off offset:52 ; 16-byte Folded Reload
	v_mul_f64 v[95:96], v[158:159], v[22:23]
	v_mul_f64 v[97:98], v[158:159], v[20:21]
	s_waitcnt vmcnt(3)
	v_mul_f64 v[111:112], v[154:155], v[34:35]
	v_mul_f64 v[113:114], v[154:155], v[32:33]
	v_fma_f64 v[48:49], v[166:167], v[48:49], v[115:116]
	v_fma_f64 v[50:51], v[166:167], v[50:51], -v[117:118]
	v_fma_f64 v[36:37], v[174:175], v[36:37], v[107:108]
	v_fma_f64 v[38:39], v[174:175], v[38:39], -v[109:110]
	;; [unrolled: 2-line block ×6, first 2 shown]
	v_mul_f64 v[12:13], v[83:84], s[2:3]
	v_mul_f64 v[34:35], v[36:37], s[2:3]
	v_mul_f64 v[36:37], v[38:39], s[2:3]
	v_mul_f64 v[14:15], v[85:86], s[2:3]
	v_mul_f64 v[16:17], v[87:88], s[2:3]
	v_mul_f64 v[18:19], v[89:90], s[2:3]
	v_mul_f64 v[20:21], v[91:92], s[2:3]
	v_mul_f64 v[22:23], v[93:94], s[2:3]
	v_mul_f64 v[24:25], v[95:96], s[2:3]
	s_waitcnt vmcnt(2)
	v_mul_f64 v[119:120], v[170:171], v[42:43]
	v_mul_f64 v[121:122], v[170:171], v[40:41]
	s_waitcnt vmcnt(1)
	v_mul_f64 v[123:124], v[178:179], v[46:47]
	v_mul_f64 v[125:126], v[178:179], v[44:45]
	scratch_load_b128 v[178:181], off, off offset:248 ; 16-byte Folded Reload
	s_waitcnt vmcnt(1)
	v_mul_f64 v[99:100], v[148:149], v[30:31]
	v_mul_f64 v[101:102], v[148:149], v[28:29]
	v_fma_f64 v[107:108], v[168:169], v[42:43], -v[121:122]
	v_mad_u64_u32 v[121:122], null, s5, v141, v[68:69]
	v_fma_f64 v[109:110], v[176:177], v[44:45], v[123:124]
	v_mul_f64 v[42:43], v[48:49], s[2:3]
	v_fma_f64 v[28:29], v[146:147], v[28:29], v[99:100]
	v_fma_f64 v[30:31], v[146:147], v[30:31], -v[101:102]
	v_fma_f64 v[99:100], v[172:173], v[26:27], -v[105:106]
	v_fma_f64 v[101:102], v[152:153], v[32:33], v[111:112]
	v_fma_f64 v[105:106], v[168:169], v[40:41], v[119:120]
	v_fma_f64 v[111:112], v[176:177], v[46:47], -v[125:126]
	v_add_co_u32 v119, s0, v137, s8
	s_delay_alu instid0(VALU_DEP_1) | instskip(SKIP_1) | instid1(VALU_DEP_3)
	v_add_co_ci_u32_e64 v120, s0, s9, v138, s0
	v_mul_f64 v[40:41], v[103:104], s[2:3]
	v_add_co_u32 v122, s0, v119, s6
	v_mul_f64 v[44:45], v[50:51], s[2:3]
	s_delay_alu instid0(VALU_DEP_4) | instskip(SKIP_1) | instid1(VALU_DEP_1)
	v_add_co_ci_u32_e64 v123, s0, s7, v120, s0
	v_mov_b32_e32 v68, v121
	v_lshlrev_b64 v[0:1], 4, v[67:68]
	v_mul_f64 v[48:49], v[107:108], s[2:3]
	v_mul_f64 v[50:51], v[109:110], s[2:3]
	;; [unrolled: 1-line block ×8, first 2 shown]
	s_waitcnt vmcnt(0) lgkmcnt(1)
	v_mul_f64 v[127:128], v[180:181], v[54:55]
	v_mul_f64 v[129:130], v[180:181], v[52:53]
	scratch_load_b128 v[180:183], off, off offset:264 ; 16-byte Folded Reload
	v_fma_f64 v[113:114], v[178:179], v[52:53], v[127:128]
	v_fma_f64 v[54:55], v[178:179], v[54:55], -v[129:130]
	v_mul_f64 v[52:53], v[111:112], s[2:3]
	s_waitcnt vmcnt(0) lgkmcnt(0)
	v_mul_f64 v[131:132], v[182:183], v[59:60]
	v_mul_f64 v[133:134], v[182:183], v[57:58]
	s_delay_alu instid0(VALU_DEP_2) | instskip(NEXT) | instid1(VALU_DEP_2)
	v_fma_f64 v[115:116], v[180:181], v[57:58], v[131:132]
	v_fma_f64 v[117:118], v[180:181], v[59:60], -v[133:134]
	v_mul_f64 v[57:58], v[113:114], s[2:3]
	v_mul_f64 v[59:60], v[54:55], s[2:3]
	v_add_co_u32 v54, s0, v122, s6
	s_delay_alu instid0(VALU_DEP_1) | instskip(NEXT) | instid1(VALU_DEP_2)
	v_add_co_ci_u32_e64 v55, s0, s7, v123, s0
	v_add_co_u32 v79, s0, v54, s8
	s_delay_alu instid0(VALU_DEP_1) | instskip(NEXT) | instid1(VALU_DEP_2)
	v_add_co_ci_u32_e64 v80, s0, s9, v55, s0
	v_add_co_u32 v67, s0, v79, s6
	s_delay_alu instid0(VALU_DEP_1) | instskip(SKIP_1) | instid1(VALU_DEP_1)
	v_add_co_ci_u32_e64 v68, s0, s7, v80, s0
	v_add_co_u32 v81, s0, v139, v0
	v_add_co_ci_u32_e64 v82, s0, v140, v1, s0
	s_delay_alu instid0(VALU_DEP_4) | instskip(NEXT) | instid1(VALU_DEP_1)
	v_add_co_u32 v0, s0, v67, s6
	v_add_co_ci_u32_e64 v1, s0, s7, v68, s0
	v_mul_f64 v[61:62], v[115:116], s[2:3]
	v_mul_f64 v[63:64], v[117:118], s[2:3]
	s_clause 0x5
	global_store_b128 v[77:78], v[2:5], off
	global_store_b128 v[65:66], v[6:9], off
	global_store_b128 v[81:82], v[10:13], off
	global_store_b128 v[69:70], v[14:17], off
	global_store_b128 v[71:72], v[18:21], off
	global_store_b128 v[73:74], v[22:25], off
	global_store_b128 v[75:76], v[26:29], off
	global_store_b128 v[135:136], v[30:33], off
	global_store_b128 v[137:138], v[34:37], off
	global_store_b128 v[119:120], v[38:41], off
	global_store_b128 v[122:123], v[42:45], off
	global_store_b128 v[54:55], v[46:49], off
	global_store_b128 v[79:80], v[50:53], off
	global_store_b128 v[67:68], v[57:60], off
	global_store_b128 v[0:1], v[61:64], off
	s_and_b32 exec_lo, exec_lo, vcc_lo
	s_cbranch_execz .LBB0_31
; %bb.30:
	scratch_load_b64 v[2:3], off, off offset:28 ; 8-byte Folded Reload
	s_waitcnt vmcnt(0)
	global_load_b128 v[2:5], v[2:3], off offset:448
	ds_load_b128 v[6:9], v56 offset:8640
	ds_load_b128 v[10:13], v56 offset:17856
	s_waitcnt vmcnt(0) lgkmcnt(1)
	v_mul_f64 v[14:15], v[8:9], v[4:5]
	v_mul_f64 v[4:5], v[6:7], v[4:5]
	s_delay_alu instid0(VALU_DEP_2) | instskip(NEXT) | instid1(VALU_DEP_2)
	v_fma_f64 v[6:7], v[6:7], v[2:3], v[14:15]
	v_fma_f64 v[4:5], v[2:3], v[8:9], -v[4:5]
	s_delay_alu instid0(VALU_DEP_2)
	v_mul_f64 v[2:3], v[6:7], s[2:3]
	v_add_co_u32 v6, vcc_lo, v0, s8
	v_add_co_ci_u32_e32 v7, vcc_lo, s9, v1, vcc_lo
	scratch_load_b64 v[0:1], off, off offset:4 ; 8-byte Folded Reload
	v_mul_f64 v[4:5], v[4:5], s[2:3]
	v_add_co_u32 v8, vcc_lo, v6, s6
	v_add_co_ci_u32_e32 v9, vcc_lo, s7, v7, vcc_lo
	global_store_b128 v[6:7], v[2:5], off
	s_waitcnt vmcnt(0)
	global_load_b128 v[0:3], v[0:1], off offset:1472
	s_waitcnt vmcnt(0) lgkmcnt(0)
	v_mul_f64 v[4:5], v[12:13], v[2:3]
	v_mul_f64 v[2:3], v[10:11], v[2:3]
	s_delay_alu instid0(VALU_DEP_2) | instskip(NEXT) | instid1(VALU_DEP_2)
	v_fma_f64 v[4:5], v[10:11], v[0:1], v[4:5]
	v_fma_f64 v[2:3], v[0:1], v[12:13], -v[2:3]
	s_delay_alu instid0(VALU_DEP_2) | instskip(NEXT) | instid1(VALU_DEP_2)
	v_mul_f64 v[0:1], v[4:5], s[2:3]
	v_mul_f64 v[2:3], v[2:3], s[2:3]
	ds_load_b128 v[4:7], v56 offset:27072
	global_store_b128 v[8:9], v[0:3], off
	scratch_load_b64 v[0:1], off, off offset:148 ; 8-byte Folded Reload
	s_waitcnt vmcnt(0)
	global_load_b128 v[0:3], v[0:1], off offset:2496
	s_waitcnt vmcnt(0) lgkmcnt(0)
	v_mul_f64 v[10:11], v[6:7], v[2:3]
	v_mul_f64 v[2:3], v[4:5], v[2:3]
	s_delay_alu instid0(VALU_DEP_2) | instskip(NEXT) | instid1(VALU_DEP_2)
	v_fma_f64 v[4:5], v[4:5], v[0:1], v[10:11]
	v_fma_f64 v[2:3], v[0:1], v[6:7], -v[2:3]
	s_delay_alu instid0(VALU_DEP_2) | instskip(NEXT) | instid1(VALU_DEP_2)
	v_mul_f64 v[0:1], v[4:5], s[2:3]
	v_mul_f64 v[2:3], v[2:3], s[2:3]
	v_add_co_u32 v4, vcc_lo, v8, s6
	v_add_co_ci_u32_e32 v5, vcc_lo, s7, v9, vcc_lo
	global_store_b128 v[4:5], v[0:3], off
.LBB0_31:
	s_nop 0
	s_sendmsg sendmsg(MSG_DEALLOC_VGPRS)
	s_endpgm
	.section	.rodata,"a",@progbits
	.p2align	6, 0x0
	.amdhsa_kernel bluestein_single_back_len1728_dim1_dp_op_CI_CI
		.amdhsa_group_segment_fixed_size 27648
		.amdhsa_private_segment_fixed_size 472
		.amdhsa_kernarg_size 104
		.amdhsa_user_sgpr_count 15
		.amdhsa_user_sgpr_dispatch_ptr 0
		.amdhsa_user_sgpr_queue_ptr 0
		.amdhsa_user_sgpr_kernarg_segment_ptr 1
		.amdhsa_user_sgpr_dispatch_id 0
		.amdhsa_user_sgpr_private_segment_size 0
		.amdhsa_wavefront_size32 1
		.amdhsa_uses_dynamic_stack 0
		.amdhsa_enable_private_segment 1
		.amdhsa_system_sgpr_workgroup_id_x 1
		.amdhsa_system_sgpr_workgroup_id_y 0
		.amdhsa_system_sgpr_workgroup_id_z 0
		.amdhsa_system_sgpr_workgroup_info 0
		.amdhsa_system_vgpr_workitem_id 0
		.amdhsa_next_free_vgpr 256
		.amdhsa_next_free_sgpr 22
		.amdhsa_reserve_vcc 1
		.amdhsa_float_round_mode_32 0
		.amdhsa_float_round_mode_16_64 0
		.amdhsa_float_denorm_mode_32 3
		.amdhsa_float_denorm_mode_16_64 3
		.amdhsa_dx10_clamp 1
		.amdhsa_ieee_mode 1
		.amdhsa_fp16_overflow 0
		.amdhsa_workgroup_processor_mode 1
		.amdhsa_memory_ordered 1
		.amdhsa_forward_progress 0
		.amdhsa_shared_vgpr_count 0
		.amdhsa_exception_fp_ieee_invalid_op 0
		.amdhsa_exception_fp_denorm_src 0
		.amdhsa_exception_fp_ieee_div_zero 0
		.amdhsa_exception_fp_ieee_overflow 0
		.amdhsa_exception_fp_ieee_underflow 0
		.amdhsa_exception_fp_ieee_inexact 0
		.amdhsa_exception_int_div_zero 0
	.end_amdhsa_kernel
	.text
.Lfunc_end0:
	.size	bluestein_single_back_len1728_dim1_dp_op_CI_CI, .Lfunc_end0-bluestein_single_back_len1728_dim1_dp_op_CI_CI
                                        ; -- End function
	.section	.AMDGPU.csdata,"",@progbits
; Kernel info:
; codeLenInByte = 22316
; NumSgprs: 24
; NumVgprs: 256
; ScratchSize: 472
; MemoryBound: 0
; FloatMode: 240
; IeeeMode: 1
; LDSByteSize: 27648 bytes/workgroup (compile time only)
; SGPRBlocks: 2
; VGPRBlocks: 31
; NumSGPRsForWavesPerEU: 24
; NumVGPRsForWavesPerEU: 256
; Occupancy: 4
; WaveLimiterHint : 1
; COMPUTE_PGM_RSRC2:SCRATCH_EN: 1
; COMPUTE_PGM_RSRC2:USER_SGPR: 15
; COMPUTE_PGM_RSRC2:TRAP_HANDLER: 0
; COMPUTE_PGM_RSRC2:TGID_X_EN: 1
; COMPUTE_PGM_RSRC2:TGID_Y_EN: 0
; COMPUTE_PGM_RSRC2:TGID_Z_EN: 0
; COMPUTE_PGM_RSRC2:TIDIG_COMP_CNT: 0
	.text
	.p2alignl 7, 3214868480
	.fill 96, 4, 3214868480
	.type	__hip_cuid_33a791ad2185625b,@object ; @__hip_cuid_33a791ad2185625b
	.section	.bss,"aw",@nobits
	.globl	__hip_cuid_33a791ad2185625b
__hip_cuid_33a791ad2185625b:
	.byte	0                               ; 0x0
	.size	__hip_cuid_33a791ad2185625b, 1

	.ident	"AMD clang version 19.0.0git (https://github.com/RadeonOpenCompute/llvm-project roc-6.4.0 25133 c7fe45cf4b819c5991fe208aaa96edf142730f1d)"
	.section	".note.GNU-stack","",@progbits
	.addrsig
	.addrsig_sym __hip_cuid_33a791ad2185625b
	.amdgpu_metadata
---
amdhsa.kernels:
  - .args:
      - .actual_access:  read_only
        .address_space:  global
        .offset:         0
        .size:           8
        .value_kind:     global_buffer
      - .actual_access:  read_only
        .address_space:  global
        .offset:         8
        .size:           8
        .value_kind:     global_buffer
      - .actual_access:  read_only
        .address_space:  global
        .offset:         16
        .size:           8
        .value_kind:     global_buffer
      - .actual_access:  read_only
        .address_space:  global
        .offset:         24
        .size:           8
        .value_kind:     global_buffer
      - .actual_access:  read_only
        .address_space:  global
        .offset:         32
        .size:           8
        .value_kind:     global_buffer
      - .offset:         40
        .size:           8
        .value_kind:     by_value
      - .address_space:  global
        .offset:         48
        .size:           8
        .value_kind:     global_buffer
      - .address_space:  global
        .offset:         56
        .size:           8
        .value_kind:     global_buffer
      - .address_space:  global
        .offset:         64
        .size:           8
        .value_kind:     global_buffer
      - .address_space:  global
        .offset:         72
        .size:           8
        .value_kind:     global_buffer
      - .offset:         80
        .size:           4
        .value_kind:     by_value
      - .address_space:  global
        .offset:         88
        .size:           8
        .value_kind:     global_buffer
      - .address_space:  global
        .offset:         96
        .size:           8
        .value_kind:     global_buffer
    .group_segment_fixed_size: 27648
    .kernarg_segment_align: 8
    .kernarg_segment_size: 104
    .language:       OpenCL C
    .language_version:
      - 2
      - 0
    .max_flat_workgroup_size: 108
    .name:           bluestein_single_back_len1728_dim1_dp_op_CI_CI
    .private_segment_fixed_size: 472
    .sgpr_count:     24
    .sgpr_spill_count: 0
    .symbol:         bluestein_single_back_len1728_dim1_dp_op_CI_CI.kd
    .uniform_work_group_size: 1
    .uses_dynamic_stack: false
    .vgpr_count:     256
    .vgpr_spill_count: 117
    .wavefront_size: 32
    .workgroup_processor_mode: 1
amdhsa.target:   amdgcn-amd-amdhsa--gfx1100
amdhsa.version:
  - 1
  - 2
...

	.end_amdgpu_metadata
